;; amdgpu-corpus repo=ROCm/rocFFT kind=compiled arch=gfx1201 opt=O3
	.text
	.amdgcn_target "amdgcn-amd-amdhsa--gfx1201"
	.amdhsa_code_object_version 6
	.protected	bluestein_single_fwd_len1815_dim1_sp_op_CI_CI ; -- Begin function bluestein_single_fwd_len1815_dim1_sp_op_CI_CI
	.globl	bluestein_single_fwd_len1815_dim1_sp_op_CI_CI
	.p2align	8
	.type	bluestein_single_fwd_len1815_dim1_sp_op_CI_CI,@function
bluestein_single_fwd_len1815_dim1_sp_op_CI_CI: ; @bluestein_single_fwd_len1815_dim1_sp_op_CI_CI
; %bb.0:
	s_load_b128 s[12:15], s[0:1], 0x28
	v_mul_u32_u24_e32 v1, 0x18e, v0
	s_mov_b32 s2, exec_lo
	v_mov_b32_e32 v73, 0
	s_delay_alu instid0(VALU_DEP_2) | instskip(NEXT) | instid1(VALU_DEP_1)
	v_lshrrev_b32_e32 v1, 16, v1
	v_add_nc_u32_e32 v72, ttmp9, v1
	s_wait_kmcnt 0x0
	s_delay_alu instid0(VALU_DEP_1)
	v_cmpx_gt_u64_e64 s[12:13], v[72:73]
	s_cbranch_execz .LBB0_18
; %bb.1:
	s_clause 0x1
	s_load_b128 s[4:7], s[0:1], 0x18
	s_load_b128 s[8:11], s[0:1], 0x0
	v_mul_lo_u16 v1, 0xa5, v1
	s_delay_alu instid0(VALU_DEP_1) | instskip(NEXT) | instid1(VALU_DEP_1)
	v_sub_nc_u16 v22, v0, v1
	v_and_b32_e32 v113, 0xffff, v22
	v_mul_lo_u16 v27, v22, 11
	s_delay_alu instid0(VALU_DEP_2)
	v_lshlrev_b32_e32 v114, 3, v113
	s_wait_kmcnt 0x0
	s_load_b128 s[16:19], s[4:5], 0x0
	s_clause 0x8
	global_load_b64 v[93:94], v114, s[8:9]
	global_load_b64 v[89:90], v114, s[8:9] offset:1320
	global_load_b64 v[91:92], v114, s[8:9] offset:2640
	;; [unrolled: 1-line block ×8, first 2 shown]
	v_add_nc_u32_e32 v28, 0x800, v114
	s_wait_kmcnt 0x0
	v_mad_co_u64_u32 v[0:1], null, s18, v72, 0
	v_mad_co_u64_u32 v[2:3], null, s16, v113, 0
	s_mul_u64 s[2:3], s[16:17], 0x528
	s_delay_alu instid0(VALU_DEP_1) | instskip(NEXT) | instid1(VALU_DEP_1)
	v_mad_co_u64_u32 v[4:5], null, s19, v72, v[1:2]
	v_mad_co_u64_u32 v[5:6], null, s17, v113, v[3:4]
	v_mov_b32_e32 v1, v4
	s_delay_alu instid0(VALU_DEP_1) | instskip(NEXT) | instid1(VALU_DEP_3)
	v_lshlrev_b64_e32 v[0:1], 3, v[0:1]
	v_mov_b32_e32 v3, v5
	s_delay_alu instid0(VALU_DEP_2) | instskip(NEXT) | instid1(VALU_DEP_2)
	v_add_co_u32 v0, vcc_lo, s14, v0
	v_lshlrev_b64_e32 v[2:3], 3, v[2:3]
	s_delay_alu instid0(VALU_DEP_4) | instskip(NEXT) | instid1(VALU_DEP_2)
	v_add_co_ci_u32_e32 v1, vcc_lo, s15, v1, vcc_lo
	v_add_co_u32 v0, vcc_lo, v0, v2
	s_wait_alu 0xfffd
	s_delay_alu instid0(VALU_DEP_2) | instskip(NEXT) | instid1(VALU_DEP_2)
	v_add_co_ci_u32_e32 v1, vcc_lo, v1, v3, vcc_lo
	v_add_co_u32 v2, vcc_lo, v0, s2
	s_wait_alu 0xfffd
	s_delay_alu instid0(VALU_DEP_2)
	v_add_co_ci_u32_e32 v3, vcc_lo, s3, v1, vcc_lo
	s_clause 0x1
	global_load_b64 v[16:17], v[0:1], off
	global_load_b64 v[14:15], v[2:3], off
	v_add_co_u32 v4, vcc_lo, v2, s2
	s_wait_alu 0xfffd
	v_add_co_ci_u32_e32 v5, vcc_lo, s3, v3, vcc_lo
	s_delay_alu instid0(VALU_DEP_2) | instskip(SKIP_1) | instid1(VALU_DEP_2)
	v_add_co_u32 v6, vcc_lo, v4, s2
	s_wait_alu 0xfffd
	v_add_co_ci_u32_e32 v7, vcc_lo, s3, v5, vcc_lo
	s_clause 0x1
	global_load_b64 v[12:13], v[4:5], off
	global_load_b64 v[4:5], v[6:7], off
	v_add_co_u32 v0, vcc_lo, v6, s2
	s_wait_alu 0xfffd
	v_add_co_ci_u32_e32 v1, vcc_lo, s3, v7, vcc_lo
	v_add_nc_u32_e32 v30, 0x1e00, v114
	s_delay_alu instid0(VALU_DEP_3) | instskip(SKIP_1) | instid1(VALU_DEP_3)
	v_add_co_u32 v2, vcc_lo, v0, s2
	s_wait_alu 0xfffd
	v_add_co_ci_u32_e32 v3, vcc_lo, s3, v1, vcc_lo
	global_load_b64 v[6:7], v[0:1], off
	v_add_co_u32 v0, vcc_lo, v2, s2
	s_wait_alu 0xfffd
	v_add_co_ci_u32_e32 v1, vcc_lo, s3, v3, vcc_lo
	global_load_b64 v[8:9], v[2:3], off
	v_add_co_u32 v2, vcc_lo, v0, s2
	s_wait_alu 0xfffd
	v_add_co_ci_u32_e32 v3, vcc_lo, s3, v1, vcc_lo
	global_load_b64 v[0:1], v[0:1], off
	v_add_co_u32 v10, vcc_lo, v2, s2
	s_wait_alu 0xfffd
	v_add_co_ci_u32_e32 v11, vcc_lo, s3, v3, vcc_lo
	global_load_b64 v[2:3], v[2:3], off
	v_add_co_u32 v18, vcc_lo, v10, s2
	s_wait_alu 0xfffd
	v_add_co_ci_u32_e32 v19, vcc_lo, s3, v11, vcc_lo
	global_load_b64 v[10:11], v[10:11], off
	v_add_co_u32 v20, vcc_lo, v18, s2
	s_wait_alu 0xfffd
	v_add_co_ci_u32_e32 v21, vcc_lo, s3, v19, vcc_lo
	global_load_b64 v[18:19], v[18:19], off
	s_clause 0x1
	global_load_b64 v[85:86], v114, s[8:9] offset:11880
	global_load_b64 v[87:88], v114, s[8:9] offset:13200
	global_load_b64 v[20:21], v[20:21], off
	v_add_nc_u32_e32 v29, 0x1400, v114
	v_add_nc_u32_e32 v31, 0x2800, v114
	s_load_b128 s[4:7], s[6:7], 0x0
	s_load_b64 s[2:3], s[0:1], 0x38
	v_cmp_gt_u16_e64 s0, 0x6e, v22
	s_wait_loadcnt 0xb
	v_mul_f32_e32 v25, v15, v90
	v_mul_f32_e32 v24, v16, v94
	;; [unrolled: 1-line block ×3, first 2 shown]
	s_delay_alu instid0(VALU_DEP_3) | instskip(NEXT) | instid1(VALU_DEP_3)
	v_fmac_f32_e32 v25, v14, v89
	v_fma_f32 v24, v17, v93, -v24
	s_wait_loadcnt 0xa
	v_mul_f32_e32 v14, v13, v92
	s_delay_alu instid0(VALU_DEP_1) | instskip(NEXT) | instid1(VALU_DEP_1)
	v_dual_mul_f32 v23, v17, v94 :: v_dual_fmac_f32 v14, v12, v91
	v_fmac_f32_e32 v23, v16, v93
	v_fma_f32 v26, v15, v89, -v26
	v_mul_f32_e32 v15, v12, v92
	s_wait_loadcnt 0x9
	v_mul_f32_e32 v16, v5, v76
	ds_store_2addr_b64 v114, v[23:24], v[25:26] offset1:165
	v_fma_f32 v15, v13, v91, -v15
	v_mul_f32_e32 v13, v4, v76
	v_fmac_f32_e32 v16, v4, v75
	s_wait_loadcnt 0x8
	v_mul_f32_e32 v4, v7, v82
	s_wait_loadcnt 0x7
	v_dual_mul_f32 v12, v9, v84 :: v_dual_mul_f32 v23, v6, v82
	v_fma_f32 v17, v5, v75, -v13
	s_delay_alu instid0(VALU_DEP_3) | instskip(NEXT) | instid1(VALU_DEP_3)
	v_dual_mul_f32 v13, v8, v84 :: v_dual_fmac_f32 v4, v6, v81
	v_fmac_f32_e32 v12, v8, v83
	s_delay_alu instid0(VALU_DEP_4)
	v_fma_f32 v5, v7, v81, -v23
	s_wait_loadcnt 0x6
	v_mul_f32_e32 v7, v0, v74
	v_mul_f32_e32 v6, v1, v74
	v_fma_f32 v13, v9, v83, -v13
	s_wait_loadcnt 0x5
	v_mul_f32_e32 v8, v3, v78
	v_fma_f32 v7, v1, v73, -v7
	s_wait_loadcnt 0x4
	v_mul_f32_e32 v1, v10, v80
	v_dual_mul_f32 v9, v2, v78 :: v_dual_fmac_f32 v6, v0, v73
	v_mul_f32_e32 v0, v11, v80
	s_wait_loadcnt 0x0
	v_dual_mul_f32 v23, v20, v88 :: v_dual_fmac_f32 v8, v2, v77
	s_delay_alu instid0(VALU_DEP_3)
	v_fma_f32 v9, v3, v77, -v9
	v_mul_f32_e32 v2, v19, v86
	v_mul_f32_e32 v3, v18, v86
	v_fmac_f32_e32 v0, v10, v79
	v_mul_f32_e32 v10, v21, v88
	v_fma_f32 v1, v11, v79, -v1
	v_fmac_f32_e32 v2, v18, v85
	v_fma_f32 v3, v19, v85, -v3
	v_fma_f32 v11, v21, v87, -v23
	v_dual_fmac_f32 v10, v20, v87 :: v_dual_add_nc_u32 v23, 0x1200, v114
	ds_store_2addr_b64 v28, v[14:15], v[16:17] offset0:74 offset1:239
	ds_store_2addr_b64 v29, v[4:5], v[12:13] offset0:20 offset1:185
	;; [unrolled: 1-line block ×4, first 2 shown]
	ds_store_b64 v114, v[10:11] offset:13200
	global_wb scope:SCOPE_SE
	s_wait_dscnt 0x0
	s_wait_kmcnt 0x0
	s_barrier_signal -1
	s_barrier_wait -1
	global_inv scope:SCOPE_SE
	ds_load_2addr_b64 v[0:3], v114 offset1:165
	ds_load_b64 v[20:21], v114 offset:13200
	ds_load_2addr_b64 v[4:7], v28 offset0:74 offset1:239
	ds_load_2addr_b64 v[8:11], v31 offset0:40 offset1:205
	v_and_b32_e32 v12, 0xffff, v27
	s_delay_alu instid0(VALU_DEP_1)
	v_lshlrev_b32_e32 v105, 3, v12
	ds_load_2addr_b64 v[12:15], v29 offset0:20 offset1:185
	ds_load_2addr_b64 v[16:19], v30 offset0:30 offset1:195
	v_add_nc_u32_e32 v30, 0x2400, v114
	global_wb scope:SCOPE_SE
	s_wait_dscnt 0x0
	s_barrier_signal -1
	s_barrier_wait -1
	global_inv scope:SCOPE_SE
	v_dual_add_f32 v24, v0, v2 :: v_dual_add_f32 v25, v1, v3
	v_dual_add_f32 v26, v20, v2 :: v_dual_add_f32 v27, v21, v3
	v_dual_sub_f32 v2, v2, v20 :: v_dual_sub_f32 v31, v4, v10
	v_dual_sub_f32 v3, v3, v21 :: v_dual_sub_f32 v32, v5, v11
	v_dual_add_f32 v28, v10, v4 :: v_dual_add_f32 v33, v8, v6
	v_add_f32_e32 v29, v11, v5
	v_dual_sub_f32 v35, v6, v8 :: v_dual_sub_f32 v36, v7, v9
	v_dual_add_f32 v37, v18, v12 :: v_dual_add_f32 v38, v19, v13
	v_mul_f32_e32 v45, 0xbf68dda4, v3
	v_dual_sub_f32 v39, v12, v18 :: v_dual_sub_f32 v40, v13, v19
	v_mul_f32_e32 v51, 0xbf68dda4, v32
	v_dual_sub_f32 v43, v14, v16 :: v_dual_sub_f32 v44, v15, v17
	v_dual_mul_f32 v47, 0xbf7d64f0, v3 :: v_dual_add_f32 v4, v24, v4
	v_dual_add_f32 v5, v25, v5 :: v_dual_mul_f32 v24, 0xbf0a6770, v3
	v_mul_f32_e32 v69, 0xbf0a6770, v40
	v_mul_f32_e32 v25, 0xbf0a6770, v2
	s_delay_alu instid0(VALU_DEP_3)
	v_dual_mul_f32 v46, 0xbf68dda4, v2 :: v_dual_add_f32 v5, v5, v7
	v_dual_mul_f32 v48, 0xbf7d64f0, v2 :: v_dual_mul_f32 v59, 0xbf7d64f0, v36
	v_dual_mul_f32 v49, 0xbf4178ce, v3 :: v_dual_mul_f32 v50, 0xbf4178ce, v2
	v_dual_add_f32 v34, v9, v7 :: v_dual_add_f32 v41, v16, v14
	v_dual_add_f32 v42, v17, v15 :: v_dual_mul_f32 v53, 0xbf4178ce, v32
	v_dual_mul_f32 v3, 0xbe903f40, v3 :: v_dual_mul_f32 v2, 0xbe903f40, v2
	v_dual_mul_f32 v54, 0xbf4178ce, v31 :: v_dual_mul_f32 v67, 0xbf4178ce, v40
	;; [unrolled: 1-line block ×4, first 2 shown]
	v_mul_f32_e32 v32, 0x3f0a6770, v32
	v_dual_mul_f32 v61, 0x3f68dda4, v36 :: v_dual_mul_f32 v106, 0x3f68dda4, v43
	v_mul_f32_e32 v63, 0xbf7d64f0, v35
	v_mul_f32_e32 v65, 0x3f68dda4, v35
	v_dual_mul_f32 v68, 0x3f7d64f0, v40 :: v_dual_mul_f32 v95, 0x3f7d64f0, v39
	v_dual_mul_f32 v70, 0xbe903f40, v40 :: v_dual_mul_f32 v97, 0xbe903f40, v39
	v_mul_f32_e32 v40, 0x3f68dda4, v40
	v_dual_mul_f32 v71, 0xbf4178ce, v39 :: v_dual_mul_f32 v100, 0xbf4178ce, v44
	v_add_f32_e32 v4, v4, v6
	v_fma_f32 v6, 0x3f575c64, v26, -v24
	v_mul_f32_e32 v99, 0x3f0a6770, v44
	v_dual_fmamk_f32 v7, v27, 0x3f575c64, v25 :: v_dual_fmac_f32 v24, 0x3f575c64, v26
	v_mul_f32_e32 v60, 0x3e903f40, v36
	v_fma_f32 v25, 0x3f575c64, v27, -v25
	v_mul_f32_e32 v52, 0xbf68dda4, v31
	v_mul_f32_e32 v31, 0x3f0a6770, v31
	v_fma_f32 v107, 0x3ed4b147, v26, -v45
	v_mul_f32_e32 v62, 0xbf0a6770, v36
	v_mul_f32_e32 v36, 0xbf4178ce, v36
	v_dual_fmamk_f32 v108, v27, 0x3ed4b147, v46 :: v_dual_fmac_f32 v45, 0x3ed4b147, v26
	v_mul_f32_e32 v64, 0x3e903f40, v35
	v_mul_f32_e32 v66, 0xbf0a6770, v35
	v_mul_f32_e32 v35, 0xbf4178ce, v35
	v_fma_f32 v46, 0x3ed4b147, v27, -v46
	v_add_f32_e32 v45, v0, v45
	v_mul_f32_e32 v101, 0x3f68dda4, v44
	v_fma_f32 v109, 0xbe11bafb, v26, -v47
	v_dual_fmamk_f32 v110, v27, 0xbe11bafb, v48 :: v_dual_fmac_f32 v47, 0xbe11bafb, v26
	v_mul_f32_e32 v96, 0xbf0a6770, v39
	v_mul_f32_e32 v39, 0x3f68dda4, v39
	;; [unrolled: 1-line block ×3, first 2 shown]
	s_delay_alu instid0(VALU_DEP_4) | instskip(SKIP_4) | instid1(VALU_DEP_3)
	v_dual_mul_f32 v44, 0xbf7d64f0, v44 :: v_dual_add_f32 v47, v0, v47
	v_fma_f32 v111, 0xbf27a4f4, v26, -v49
	v_dual_fmamk_f32 v112, v27, 0xbf27a4f4, v50 :: v_dual_fmac_f32 v49, 0xbf27a4f4, v26
	v_mul_f32_e32 v102, 0xbe903f40, v43
	v_dual_mul_f32 v103, 0x3f0a6770, v43 :: v_dual_add_f32 v24, v0, v24
	v_dual_mul_f32 v104, 0xbf4178ce, v43 :: v_dual_add_f32 v49, v0, v49
	v_mul_f32_e32 v43, 0xbf7d64f0, v43
	v_fma_f32 v48, 0xbe11bafb, v27, -v48
	v_fma_f32 v50, 0xbf27a4f4, v27, -v50
	;; [unrolled: 1-line block ×3, first 2 shown]
	v_dual_fmac_f32 v3, 0xbf75a155, v26 :: v_dual_fmamk_f32 v26, v27, 0xbf75a155, v2
	v_fma_f32 v2, 0xbf75a155, v27, -v2
	v_fma_f32 v27, 0x3ed4b147, v28, -v51
	v_fmac_f32_e32 v51, 0x3ed4b147, v28
	v_fma_f32 v117, 0xbf27a4f4, v28, -v53
	v_dual_fmamk_f32 v118, v29, 0xbf27a4f4, v54 :: v_dual_fmac_f32 v53, 0xbf27a4f4, v28
	v_fma_f32 v54, 0xbf27a4f4, v29, -v54
	v_fma_f32 v119, 0xbf75a155, v28, -v55
	v_dual_fmamk_f32 v120, v29, 0xbf75a155, v56 :: v_dual_fmac_f32 v55, 0xbf75a155, v28
	v_fma_f32 v56, 0xbf75a155, v29, -v56
	;; [unrolled: 3-line block ×3, first 2 shown]
	v_fma_f32 v123, 0x3f575c64, v28, -v32
	v_fmac_f32_e32 v32, 0x3f575c64, v28
	v_dual_fmamk_f32 v28, v29, 0x3f575c64, v31 :: v_dual_fmamk_f32 v137, v38, 0x3f575c64, v96
	v_fma_f32 v125, 0x3ed4b147, v33, -v61
	v_dual_fmac_f32 v61, 0x3ed4b147, v33 :: v_dual_fmamk_f32 v146, v42, 0x3ed4b147, v106
	v_fma_f32 v126, 0x3f575c64, v33, -v62
	v_fma_f32 v127, 0xbf27a4f4, v33, -v36
	v_dual_fmac_f32 v36, 0xbf27a4f4, v33 :: v_dual_fmamk_f32 v131, v34, 0xbf27a4f4, v35
	v_dual_fmamk_f32 v128, v34, 0xbf75a155, v64 :: v_dual_add_f32 v5, v5, v13
	v_fmac_f32_e32 v62, 0x3f575c64, v33
	v_fma_f32 v64, 0xbf75a155, v34, -v64
	v_fmamk_f32 v129, v34, 0x3ed4b147, v65
	v_fma_f32 v65, 0x3ed4b147, v34, -v65
	v_fma_f32 v132, 0xbe11bafb, v37, -v68
	v_fmac_f32_e32 v68, 0xbe11bafb, v37
	v_fma_f32 v133, 0x3f575c64, v37, -v69
	v_fmac_f32_e32 v69, 0x3f575c64, v37
	v_fma_f32 v134, 0xbf75a155, v37, -v70
	v_fma_f32 v135, 0x3ed4b147, v37, -v40
	v_fmac_f32_e32 v40, 0x3ed4b147, v37
	v_fma_f32 v96, 0x3f575c64, v38, -v96
	v_fmamk_f32 v138, v38, 0xbf75a155, v97
	v_fma_f32 v97, 0xbf75a155, v38, -v97
	v_dual_fmamk_f32 v139, v38, 0x3ed4b147, v39 :: v_dual_add_f32 v50, v1, v50
	v_fma_f32 v141, 0xbf27a4f4, v41, -v100
	v_fmac_f32_e32 v100, 0xbf27a4f4, v41
	v_fma_f32 v143, 0xbe11bafb, v41, -v44
	v_dual_fmac_f32 v44, 0xbe11bafb, v41 :: v_dual_fmamk_f32 v147, v42, 0xbe11bafb, v43
	v_add_f32_e32 v6, v0, v6
	v_fmamk_f32 v130, v34, 0x3f575c64, v66
	v_fma_f32 v66, 0x3f575c64, v34, -v66
	v_fma_f32 v140, 0x3f575c64, v41, -v99
	v_fmac_f32_e32 v99, 0x3f575c64, v41
	v_add_f32_e32 v7, v1, v7
	v_fma_f32 v124, 0xbf75a155, v33, -v60
	v_fmac_f32_e32 v60, 0xbf75a155, v33
	v_add_f32_e32 v25, v1, v25
	v_fmamk_f32 v116, v29, 0x3ed4b147, v52
	v_fma_f32 v52, 0x3ed4b147, v29, -v52
	v_fma_f32 v29, 0x3f575c64, v29, -v31
	;; [unrolled: 1-line block ×3, first 2 shown]
	v_dual_fmac_f32 v59, 0xbe11bafb, v33 :: v_dual_add_f32 v48, v1, v48
	v_fmamk_f32 v33, v34, 0xbe11bafb, v63
	v_fma_f32 v63, 0xbe11bafb, v34, -v63
	v_fma_f32 v34, 0xbf27a4f4, v34, -v35
	;; [unrolled: 1-line block ×3, first 2 shown]
	v_fmac_f32_e32 v67, 0xbf27a4f4, v37
	v_fmac_f32_e32 v70, 0xbf75a155, v37
	v_fmamk_f32 v37, v38, 0xbf27a4f4, v71
	v_fma_f32 v71, 0xbf27a4f4, v38, -v71
	v_fmamk_f32 v136, v38, 0xbe11bafb, v95
	v_fma_f32 v95, 0xbe11bafb, v38, -v95
	v_fma_f32 v38, 0x3ed4b147, v38, -v39
	;; [unrolled: 1-line block ×3, first 2 shown]
	v_fmac_f32_e32 v98, 0xbf75a155, v41
	v_add_f32_e32 v46, v1, v46
	v_fma_f32 v142, 0x3ed4b147, v41, -v101
	v_fmac_f32_e32 v101, 0x3ed4b147, v41
	v_dual_fmamk_f32 v41, v42, 0xbf75a155, v102 :: v_dual_add_f32 v4, v4, v12
	v_fma_f32 v102, 0xbf75a155, v42, -v102
	v_fmamk_f32 v144, v42, 0x3f575c64, v103
	v_fma_f32 v103, 0x3f575c64, v42, -v103
	v_dual_fmamk_f32 v145, v42, 0xbf27a4f4, v104 :: v_dual_add_f32 v12, v1, v26
	v_fma_f32 v104, 0xbf27a4f4, v42, -v104
	v_fma_f32 v106, 0x3ed4b147, v42, -v106
	;; [unrolled: 1-line block ×3, first 2 shown]
	v_add_f32_e32 v43, v0, v107
	v_dual_add_f32 v107, v1, v108 :: v_dual_add_f32 v108, v0, v109
	v_dual_add_f32 v109, v1, v110 :: v_dual_add_f32 v110, v0, v111
	;; [unrolled: 1-line block ×7, first 2 shown]
	v_add_f32_e32 v13, v117, v43
	v_dual_add_f32 v14, v118, v107 :: v_dual_add_f32 v15, v53, v45
	v_dual_add_f32 v24, v54, v46 :: v_dual_add_f32 v1, v29, v1
	;; [unrolled: 1-line block ×3, first 2 shown]
	v_add_f32_e32 v7, v63, v7
	v_add_f32_e32 v27, v55, v47
	;; [unrolled: 1-line block ×3, first 2 shown]
	v_dual_add_f32 v45, v121, v110 :: v_dual_add_f32 v46, v122, v111
	v_add_f32_e32 v3, v3, v17
	v_dual_add_f32 v47, v57, v49 :: v_dual_add_f32 v48, v58, v50
	v_dual_add_f32 v5, v33, v5 :: v_dual_add_f32 v12, v28, v12
	;; [unrolled: 1-line block ×4, first 2 shown]
	v_add_f32_e32 v13, v124, v13
	v_add_f32_e32 v49, v123, v112
	v_dual_add_f32 v4, v31, v4 :: v_dual_add_f32 v15, v60, v15
	v_dual_add_f32 v6, v59, v6 :: v_dual_add_f32 v27, v126, v45
	;; [unrolled: 1-line block ×18, first 2 shown]
	s_delay_alu instid0(VALU_DEP_3) | instskip(SKIP_1) | instid1(VALU_DEP_3)
	v_dual_add_f32 v36, v40, v0 :: v_dual_add_f32 v5, v145, v18
	v_add_f32_e32 v38, v2, v8
	v_dual_add_f32 v40, v3, v9 :: v_dual_add_f32 v9, v146, v26
	v_dual_add_f32 v34, v135, v32 :: v_dual_add_f32 v33, v102, v7
	v_add_f32_e32 v0, v39, v4
	v_dual_add_f32 v32, v98, v6 :: v_dual_add_f32 v29, v103, v16
	v_dual_add_f32 v3, v144, v14 :: v_dual_add_f32 v4, v141, v17
	;; [unrolled: 1-line block ×3, first 2 shown]
	v_add_f32_e32 v2, v140, v13
	v_dual_add_f32 v28, v99, v15 :: v_dual_add_f32 v11, v42, v37
	v_dual_add_f32 v8, v142, v25 :: v_dual_add_f32 v7, v104, v24
	v_add_f32_e32 v14, v143, v34
	v_add_f32_e32 v15, v147, v35
	;; [unrolled: 1-line block ×3, first 2 shown]
	v_dual_add_f32 v13, v106, v31 :: v_dual_add_f32 v10, v44, v36
	v_dual_add_f32 v6, v100, v19 :: v_dual_add_f32 v17, v17, v21
	v_add_f32_e32 v16, v16, v20
	ds_store_2addr_b64 v105, v[8:9], v[14:15] offset0:4 offset1:5
	ds_store_2addr_b64 v105, v[10:11], v[12:13] offset0:6 offset1:7
	;; [unrolled: 1-line block ×3, first 2 shown]
	ds_store_b64 v105, v[32:33] offset:80
	ds_store_2addr_b64 v105, v[16:17], v[0:1] offset1:1
	ds_store_2addr_b64 v105, v[2:3], v[4:5] offset0:2 offset1:3
	global_wb scope:SCOPE_SE
	s_wait_dscnt 0x0
	s_barrier_signal -1
	s_barrier_wait -1
	global_inv scope:SCOPE_SE
	ds_load_2addr_b64 v[0:3], v114 offset1:165
	ds_load_2addr_b64 v[24:27], v23 offset0:29 offset1:194
	ds_load_2addr_b64 v[4:7], v30 offset0:58 offset1:223
	ds_load_b64 v[30:31], v114 offset:2640
	ds_load_b64 v[36:37], v114 offset:7480
	;; [unrolled: 1-line block ×3, first 2 shown]
                                        ; implicit-def: $vgpr38
	s_and_saveexec_b32 s1, s0
	s_cbranch_execz .LBB0_3
; %bb.2:
	ds_load_b64 v[28:29], v114 offset:3960
	ds_load_b64 v[32:33], v114 offset:8800
	;; [unrolled: 1-line block ×3, first 2 shown]
.LBB0_3:
	s_wait_alu 0xfffe
	s_or_b32 exec_lo, exec_lo, s1
	v_add_nc_u16 v95, v113, 0x14a
	v_add_nc_u16 v8, v113, 0x1ef
	v_and_b32_e32 v11, 0xff, v113
	v_add_co_u32 v97, null, 0xa5, v113
	s_delay_alu instid0(VALU_DEP_4) | instskip(NEXT) | instid1(VALU_DEP_4)
	v_and_b32_e32 v96, 0xffff, v95
	v_and_b32_e32 v9, 0xffff, v8
	s_delay_alu instid0(VALU_DEP_3) | instskip(NEXT) | instid1(VALU_DEP_3)
	v_and_b32_e32 v98, 0xffff, v97
	v_mul_u32_u24_e32 v10, 0xba2f, v96
	s_delay_alu instid0(VALU_DEP_3) | instskip(NEXT) | instid1(VALU_DEP_3)
	v_mul_u32_u24_e32 v9, 0xba2f, v9
	v_mul_u32_u24_e32 v12, 0xba2f, v98
	s_delay_alu instid0(VALU_DEP_3) | instskip(NEXT) | instid1(VALU_DEP_3)
	v_lshrrev_b32_e32 v40, 19, v10
	v_lshrrev_b32_e32 v115, 19, v9
	v_mul_lo_u16 v10, 0x75, v11
	s_delay_alu instid0(VALU_DEP_4) | instskip(NEXT) | instid1(VALU_DEP_4)
	v_lshrrev_b32_e32 v42, 19, v12
	v_mul_lo_u16 v9, v40, 11
	s_delay_alu instid0(VALU_DEP_4) | instskip(NEXT) | instid1(VALU_DEP_4)
	v_mul_lo_u16 v11, v115, 11
	v_lshrrev_b16 v10, 8, v10
	s_delay_alu instid0(VALU_DEP_4) | instskip(NEXT) | instid1(VALU_DEP_4)
	v_mul_lo_u16 v16, v42, 11
	v_sub_nc_u16 v41, v95, v9
	s_delay_alu instid0(VALU_DEP_4) | instskip(NEXT) | instid1(VALU_DEP_4)
	v_sub_nc_u16 v116, v8, v11
	v_sub_nc_u16 v9, v113, v10
	s_delay_alu instid0(VALU_DEP_4) | instskip(NEXT) | instid1(VALU_DEP_4)
	v_sub_nc_u16 v44, v97, v16
	v_lshlrev_b16 v8, 1, v41
	s_delay_alu instid0(VALU_DEP_4) | instskip(NEXT) | instid1(VALU_DEP_4)
	v_lshlrev_b16 v11, 1, v116
	v_lshrrev_b16 v9, 1, v9
	v_mad_u16 v40, v40, 33, v41
	v_mad_u16 v42, v42, 33, v44
	v_and_b32_e32 v8, 0xffff, v8
	v_and_b32_e32 v11, 0xffff, v11
	;; [unrolled: 1-line block ×3, first 2 shown]
	s_delay_alu instid0(VALU_DEP_3) | instskip(NEXT) | instid1(VALU_DEP_2)
	v_lshlrev_b32_e32 v8, 3, v8
	v_add_nc_u16 v9, v9, v10
	global_load_b128 v[12:15], v8, s[10:11]
	v_lshrrev_b16 v43, 3, v9
	s_delay_alu instid0(VALU_DEP_1) | instskip(SKIP_1) | instid1(VALU_DEP_2)
	v_mul_lo_u16 v17, v43, 11
	v_and_b32_e32 v41, 0xffff, v43
	v_sub_nc_u16 v16, v113, v17
	v_lshlrev_b16 v17, 1, v44
	s_delay_alu instid0(VALU_DEP_3) | instskip(SKIP_3) | instid1(VALU_DEP_1)
	v_mul_u32_u24_e32 v41, 33, v41
	s_wait_loadcnt_dscnt 0x1
	v_dual_mul_f32 v43, v36, v13 :: v_dual_lshlrev_b32 v10, 3, v11
	s_wait_dscnt 0x0
	v_dual_mul_f32 v44, v35, v15 :: v_dual_fmac_f32 v43, v37, v12
	global_load_b128 v[8:11], v10, s[10:11]
	v_and_b32_e32 v40, 0xffff, v40
	s_wait_loadcnt 0x0
	s_delay_alu instid0(VALU_DEP_1) | instskip(SKIP_3) | instid1(VALU_DEP_3)
	v_dual_mul_f32 v40, v38, v11 :: v_dual_lshlrev_b32 v117, 3, v40
	v_and_b32_e32 v45, 0xff, v16
	v_dual_mul_f32 v47, v39, v11 :: v_dual_and_b32 v16, 0xffff, v17
	v_mul_f32_e32 v46, v33, v9
	v_dual_fmac_f32 v40, v39, v10 :: v_dual_lshlrev_b32 v17, 4, v45
	v_add_lshl_u32 v119, v41, v45, 3
	v_mul_f32_e32 v45, v34, v15
	v_dual_mul_f32 v41, v32, v9 :: v_dual_and_b32 v42, 0xffff, v42
	s_delay_alu instid0(VALU_DEP_2) | instskip(NEXT) | instid1(VALU_DEP_2)
	v_fmac_f32_e32 v45, v35, v14
	v_dual_fmac_f32 v41, v33, v8 :: v_dual_lshlrev_b32 v118, 3, v42
	v_mul_f32_e32 v42, v37, v13
	s_delay_alu instid0(VALU_DEP_3) | instskip(SKIP_2) | instid1(VALU_DEP_4)
	v_dual_sub_f32 v39, v43, v45 :: v_dual_lshlrev_b32 v16, 3, v16
	v_fma_f32 v37, v34, v14, -v44
	v_fma_f32 v34, v32, v8, -v46
	;; [unrolled: 1-line block ×3, first 2 shown]
	v_add_f32_e32 v42, v31, v43
	s_clause 0x1
	global_load_b128 v[20:23], v17, s[10:11]
	global_load_b128 v[16:19], v16, s[10:11]
	v_fma_f32 v32, v38, v10, -v47
	v_add_f32_e32 v43, v43, v45
	v_dual_add_f32 v38, v36, v37 :: v_dual_add_f32 v33, v30, v36
	v_sub_f32_e32 v47, v41, v40
	s_delay_alu instid0(VALU_DEP_4)
	v_add_f32_e32 v46, v34, v32
	v_sub_f32_e32 v49, v34, v32
	v_add_f32_e32 v48, v41, v40
	v_fma_f32 v30, -0.5, v38, v30
	v_sub_f32_e32 v44, v36, v37
	v_dual_add_f32 v36, v42, v45 :: v_dual_fmac_f32 v31, -0.5, v43
	global_wb scope:SCOPE_SE
	s_wait_loadcnt 0x0
	s_barrier_signal -1
	s_barrier_wait -1
	global_inv scope:SCOPE_SE
	v_add_f32_e32 v35, v33, v37
	v_mul_f32_e32 v50, v25, v21
	v_dual_mul_f32 v51, v24, v21 :: v_dual_mul_f32 v52, v5, v23
	v_mul_f32_e32 v55, v26, v17
	v_dual_mul_f32 v53, v4, v23 :: v_dual_mul_f32 v54, v27, v17
	v_mul_f32_e32 v56, v7, v19
	v_mul_f32_e32 v57, v6, v19
	v_fma_f32 v62, -0.5, v46, v28
	v_fma_f32 v24, v24, v20, -v50
	v_fmac_f32_e32 v51, v25, v20
	v_fma_f32 v25, v4, v22, -v52
	v_fma_f32 v63, -0.5, v48, v29
	v_dual_fmac_f32 v53, v5, v22 :: v_dual_fmamk_f32 v60, v47, 0x3f5db3d7, v62
	v_fma_f32 v26, v26, v16, -v54
	v_dual_fmac_f32 v55, v27, v16 :: v_dual_fmac_f32 v62, 0xbf5db3d7, v47
	v_fma_f32 v27, v6, v18, -v56
	v_fmamk_f32 v4, v39, 0x3f5db3d7, v30
	v_dual_fmac_f32 v57, v7, v18 :: v_dual_add_f32 v6, v0, v24
	v_dual_add_f32 v7, v24, v25 :: v_dual_fmac_f32 v30, 0xbf5db3d7, v39
	v_dual_fmamk_f32 v5, v44, 0xbf5db3d7, v31 :: v_dual_add_f32 v38, v51, v53
	v_fmac_f32_e32 v31, 0x3f5db3d7, v44
	v_dual_fmamk_f32 v61, v49, 0xbf5db3d7, v63 :: v_dual_add_f32 v42, v26, v27
	v_dual_sub_f32 v33, v51, v53 :: v_dual_sub_f32 v46, v26, v27
	v_add_f32_e32 v44, v3, v55
	v_fma_f32 v0, -0.5, v7, v0
	v_dual_sub_f32 v39, v24, v25 :: v_dual_add_f32 v24, v2, v26
	v_dual_add_f32 v37, v1, v51 :: v_dual_add_f32 v6, v6, v25
	v_sub_f32_e32 v43, v55, v57
	v_fma_f32 v2, -0.5, v42, v2
	s_delay_alu instid0(VALU_DEP_4) | instskip(SKIP_2) | instid1(VALU_DEP_4)
	v_dual_add_f32 v24, v24, v27 :: v_dual_add_f32 v45, v55, v57
	v_fma_f32 v1, -0.5, v38, v1
	v_add_f32_e32 v7, v37, v53
	v_fmamk_f32 v37, v43, 0x3f5db3d7, v2
	s_delay_alu instid0(VALU_DEP_4)
	v_dual_fmac_f32 v2, 0xbf5db3d7, v43 :: v_dual_fmac_f32 v3, -0.5, v45
	v_fmamk_f32 v26, v33, 0x3f5db3d7, v0
	v_dual_fmac_f32 v0, 0xbf5db3d7, v33 :: v_dual_fmamk_f32 v27, v39, 0xbf5db3d7, v1
	v_fmac_f32_e32 v63, 0x3f5db3d7, v49
	v_fmac_f32_e32 v1, 0x3f5db3d7, v39
	v_dual_add_f32 v25, v44, v57 :: v_dual_fmamk_f32 v38, v46, 0xbf5db3d7, v3
	v_fmac_f32_e32 v3, 0x3f5db3d7, v46
	ds_store_2addr_b64 v119, v[6:7], v[26:27] offset1:11
	ds_store_b64 v119, v[0:1] offset:176
	ds_store_2addr_b64 v118, v[24:25], v[37:38] offset1:11
	ds_store_b64 v118, v[2:3] offset:176
	;; [unrolled: 2-line block ×3, first 2 shown]
	s_and_saveexec_b32 s1, s0
	s_cbranch_execz .LBB0_5
; %bb.4:
	v_mad_u16 v0, v115, 33, v116
	v_dual_add_f32 v1, v29, v41 :: v_dual_add_f32 v2, v28, v34
	s_delay_alu instid0(VALU_DEP_2) | instskip(NEXT) | instid1(VALU_DEP_2)
	v_and_b32_e32 v3, 0xffff, v0
	v_add_f32_e32 v1, v1, v40
	s_delay_alu instid0(VALU_DEP_3) | instskip(NEXT) | instid1(VALU_DEP_3)
	v_add_f32_e32 v0, v2, v32
	v_lshlrev_b32_e32 v2, 3, v3
	ds_store_2addr_b64 v2, v[0:1], v[60:61] offset1:11
	ds_store_b64 v2, v[62:63] offset:176
.LBB0_5:
	s_wait_alu 0xfffe
	s_or_b32 exec_lo, exec_lo, s1
	v_add_nc_u32_e32 v0, 0xa00, v114
	v_add_nc_u32_e32 v1, 0x1400, v114
	;; [unrolled: 1-line block ×4, first 2 shown]
	global_wb scope:SCOPE_SE
	s_wait_dscnt 0x0
	s_barrier_signal -1
	s_barrier_wait -1
	global_inv scope:SCOPE_SE
	ds_load_2addr_b64 v[40:43], v114 offset1:165
	ds_load_2addr_b64 v[56:59], v0 offset0:43 offset1:208
	ds_load_2addr_b64 v[52:55], v1 offset0:86 offset1:251
	;; [unrolled: 1-line block ×4, first 2 shown]
	v_add_co_u32 v64, s1, s8, v114
	s_wait_alu 0xf1ff
	v_add_co_ci_u32_e64 v65, null, s9, 0, s1
	v_cmp_gt_u16_e32 vcc_lo, 33, v113
                                        ; implicit-def: $vgpr66
                                        ; implicit-def: $vgpr68
                                        ; implicit-def: $vgpr70
	s_and_saveexec_b32 s1, vcc_lo
	s_cbranch_execz .LBB0_7
; %bb.6:
	ds_load_b64 v[60:61], v114 offset:2640
	ds_load_b64 v[62:63], v114 offset:5544
	;; [unrolled: 1-line block ×5, first 2 shown]
.LBB0_7:
	s_wait_alu 0xfffe
	s_or_b32 exec_lo, exec_lo, s1
	v_and_b32_e32 v0, 0xff, v113
	v_mul_u32_u24_e32 v1, 0xf83f, v98
	s_delay_alu instid0(VALU_DEP_2) | instskip(NEXT) | instid1(VALU_DEP_2)
	v_mul_lo_u16 v0, 0xf9, v0
	v_lshrrev_b32_e32 v99, 21, v1
	s_delay_alu instid0(VALU_DEP_2) | instskip(NEXT) | instid1(VALU_DEP_2)
	v_lshrrev_b16 v98, 13, v0
	v_mul_lo_u16 v2, v99, 33
	v_mul_u32_u24_e32 v0, 0xf83f, v96
	s_delay_alu instid0(VALU_DEP_3) | instskip(NEXT) | instid1(VALU_DEP_3)
	v_mul_lo_u16 v1, v98, 33
	v_sub_nc_u16 v96, v97, v2
	s_delay_alu instid0(VALU_DEP_3) | instskip(NEXT) | instid1(VALU_DEP_3)
	v_lshrrev_b32_e32 v0, 21, v0
	v_sub_nc_u16 v1, v113, v1
	s_delay_alu instid0(VALU_DEP_2) | instskip(NEXT) | instid1(VALU_DEP_2)
	v_mul_lo_u16 v0, v0, 33
	v_and_b32_e32 v97, 0xff, v1
	v_lshlrev_b16 v1, 5, v96
	s_delay_alu instid0(VALU_DEP_3) | instskip(SKIP_1) | instid1(VALU_DEP_4)
	v_sub_nc_u16 v95, v95, v0
	v_mad_u16 v96, 0xa5, v99, v96
	v_lshlrev_b32_e32 v2, 5, v97
	s_delay_alu instid0(VALU_DEP_4) | instskip(NEXT) | instid1(VALU_DEP_4)
	v_and_b32_e32 v0, 0xffff, v1
	v_lshlrev_b16 v3, 5, v95
	v_and_b32_e32 v120, 0xffff, v95
	s_clause 0x1
	global_load_b128 v[36:39], v2, s[10:11] offset:176
	global_load_b128 v[32:35], v2, s[10:11] offset:192
	v_and_b32_e32 v2, 0xffff, v3
	v_add_co_u32 v0, s1, s10, v0
	s_wait_alu 0xf1ff
	v_add_co_ci_u32_e64 v1, null, s11, 0, s1
	v_and_b32_e32 v98, 0xffff, v98
	global_load_b128 v[28:31], v[0:1], off offset:176
	s_wait_loadcnt_dscnt 0x203
	v_dual_mul_f32 v95, v57, v37 :: v_dual_and_b32 v96, 0xffff, v96
	v_add_co_u32 v2, s1, s10, v2
	s_wait_alu 0xf1ff
	v_add_co_ci_u32_e64 v3, null, s11, 0, s1
	s_wait_loadcnt_dscnt 0x101
	v_mul_f32_e32 v99, v49, v33
	s_clause 0x2
	global_load_b128 v[24:27], v[0:1], off offset:192
	global_load_b128 v[4:7], v[2:3], off offset:176
	;; [unrolled: 1-line block ×3, first 2 shown]
	v_mul_u32_u24_e32 v98, 0xa5, v98
	s_wait_loadcnt_dscnt 0x300
	v_dual_mul_f32 v108, v44, v35 :: v_dual_mul_f32 v109, v58, v29
	v_dual_mul_f32 v96, v56, v37 :: v_dual_lshlrev_b32 v121, 3, v96
	s_delay_alu instid0(VALU_DEP_3)
	v_add_lshl_u32 v122, v98, v97, 3
	v_mul_f32_e32 v97, v53, v39
	v_mul_f32_e32 v111, v54, v31
	v_mul_f32_e32 v98, v52, v39
	v_dual_mul_f32 v100, v48, v33 :: v_dual_mul_f32 v101, v45, v35
	v_mul_f32_e32 v102, v59, v29
	v_fma_f32 v56, v56, v36, -v95
	v_mul_f32_e32 v110, v55, v31
	v_dual_fmac_f32 v96, v57, v36 :: v_dual_fmac_f32 v111, v55, v30
	v_fma_f32 v52, v52, v38, -v97
	v_fma_f32 v130, v44, v34, -v101
	global_wb scope:SCOPE_SE
	s_wait_loadcnt 0x0
	s_barrier_signal -1
	s_barrier_wait -1
	global_inv scope:SCOPE_SE
	v_fmac_f32_e32 v109, v59, v28
	v_sub_f32_e32 v59, v52, v56
	s_delay_alu instid0(VALU_DEP_2)
	v_sub_f32_e32 v135, v109, v111
	v_add_f32_e32 v131, v43, v109
	v_mul_f32_e32 v123, v50, v25
	v_dual_mul_f32 v107, v62, v5 :: v_dual_mul_f32 v124, v47, v27
	v_dual_mul_f32 v125, v46, v27 :: v_dual_mul_f32 v126, v63, v5
	v_dual_mul_f32 v127, v67, v7 :: v_dual_mul_f32 v128, v69, v1
	v_mul_f32_e32 v106, v66, v7
	v_dual_mul_f32 v104, v68, v1 :: v_dual_mul_f32 v129, v71, v3
	v_dual_mul_f32 v103, v70, v3 :: v_dual_fmac_f32 v108, v45, v34
	v_fmac_f32_e32 v107, v63, v4
	v_mul_f32_e32 v112, v51, v25
	v_dual_fmac_f32 v98, v53, v38 :: v_dual_fmac_f32 v123, v51, v24
	v_fma_f32 v53, v48, v32, -v99
	v_dual_fmac_f32 v100, v49, v32 :: v_dual_fmac_f32 v125, v47, v26
	v_fma_f32 v48, v58, v28, -v102
	v_fma_f32 v47, v66, v6, -v127
	s_delay_alu instid0(VALU_DEP_4)
	v_dual_fmac_f32 v106, v67, v6 :: v_dual_sub_f32 v55, v130, v53
	v_fma_f32 v45, v68, v0, -v128
	v_dual_fmac_f32 v104, v69, v0 :: v_dual_fmac_f32 v103, v71, v2
	v_fma_f32 v44, v70, v2, -v129
	v_add_f32_e32 v49, v40, v56
	v_fma_f32 v54, v54, v30, -v110
	v_sub_f32_e32 v63, v96, v108
	v_fma_f32 v57, v50, v24, -v112
	v_sub_f32_e32 v51, v56, v52
	v_fma_f32 v110, v46, v26, -v124
	v_fma_f32 v46, v62, v4, -v126
	v_dual_add_f32 v50, v52, v53 :: v_dual_add_f32 v67, v41, v96
	v_dual_sub_f32 v66, v98, v100 :: v_dual_sub_f32 v69, v56, v130
	v_dual_add_f32 v58, v56, v130 :: v_dual_add_f32 v99, v42, v48
	v_dual_sub_f32 v62, v53, v130 :: v_dual_sub_f32 v71, v108, v100
	;; [unrolled: 2-line block ×3, first 2 shown]
	v_dual_sub_f32 v56, v96, v98 :: v_dual_add_f32 v101, v54, v57
	v_dual_add_f32 v95, v96, v108 :: v_dual_sub_f32 v112, v109, v125
	v_sub_f32_e32 v96, v98, v96
	v_dual_sub_f32 v97, v100, v108 :: v_dual_sub_f32 v124, v111, v123
	v_sub_f32_e32 v102, v48, v54
	v_dual_sub_f32 v126, v110, v57 :: v_dual_sub_f32 v133, v48, v110
	v_dual_sub_f32 v128, v54, v48 :: v_dual_add_f32 v137, v109, v125
	v_dual_add_f32 v132, v111, v123 :: v_dual_sub_f32 v141, v106, v104
	v_dual_sub_f32 v138, v123, v125 :: v_dual_add_f32 v147, v106, v104
	v_dual_add_f32 v139, v47, v45 :: v_dual_sub_f32 v142, v46, v47
	v_dual_add_f32 v144, v46, v44 :: v_dual_sub_f32 v149, v47, v45
	v_add_f32_e32 v152, v107, v103
	v_dual_sub_f32 v134, v54, v57 :: v_dual_sub_f32 v145, v47, v46
	v_dual_sub_f32 v136, v125, v123 :: v_dual_sub_f32 v109, v111, v109
	;; [unrolled: 1-line block ×4, first 2 shown]
	v_dual_sub_f32 v148, v46, v44 :: v_dual_add_f32 v155, v51, v55
	v_sub_f32_e32 v150, v107, v106
	v_dual_sub_f32 v151, v103, v104 :: v_dual_sub_f32 v154, v104, v103
	v_dual_add_f32 v52, v49, v52 :: v_dual_add_f32 v55, v67, v98
	v_fma_f32 v48, -0.5, v50, v40
	v_fma_f32 v40, -0.5, v58, v40
	v_add_f32_e32 v156, v59, v62
	v_fma_f32 v49, -0.5, v68, v41
	v_add_f32_e32 v68, v56, v71
	v_fma_f32 v41, -0.5, v95, v41
	v_dual_add_f32 v71, v96, v97 :: v_dual_add_f32 v56, v99, v54
	v_fma_f32 v50, -0.5, v101, v42
	v_dual_add_f32 v126, v102, v126 :: v_dual_add_f32 v59, v131, v111
	v_fma_f32 v42, -0.5, v127, v42
	v_add_f32_e32 v127, v128, v129
	v_fma_f32 v51, -0.5, v132, v43
	v_fmac_f32_e32 v43, -0.5, v137
	v_fma_f32 v95, -0.5, v139, v60
	v_fma_f32 v97, -0.5, v144, v60
	;; [unrolled: 1-line block ×4, first 2 shown]
	v_add_f32_e32 v111, v135, v136
	v_dual_add_f32 v129, v145, v146 :: v_dual_add_f32 v62, v52, v53
	v_dual_add_f32 v131, v150, v151 :: v_dual_add_f32 v132, v153, v154
	v_add_f32_e32 v67, v55, v100
	v_fmamk_f32 v52, v63, 0x3f737871, v48
	v_dual_fmac_f32 v48, 0xbf737871, v63 :: v_dual_fmamk_f32 v53, v69, 0xbf737871, v49
	v_fmamk_f32 v54, v66, 0xbf737871, v40
	v_dual_fmac_f32 v40, 0x3f737871, v66 :: v_dual_fmamk_f32 v55, v70, 0x3f737871, v41
	v_add_f32_e32 v135, v56, v57
	v_dual_fmamk_f32 v56, v112, 0x3f737871, v50 :: v_dual_add_f32 v123, v59, v123
	v_fmac_f32_e32 v50, 0xbf737871, v112
	v_fmamk_f32 v59, v134, 0x3f737871, v43
	v_dual_fmac_f32 v43, 0xbf737871, v134 :: v_dual_fmamk_f32 v102, v148, 0xbf737871, v96
	v_dual_fmamk_f32 v101, v140, 0x3f737871, v95 :: v_dual_fmamk_f32 v100, v149, 0x3f737871, v98
	v_dual_fmac_f32 v95, 0xbf737871, v140 :: v_dual_fmac_f32 v98, 0xbf737871, v149
	v_dual_fmamk_f32 v99, v141, 0xbf737871, v97 :: v_dual_add_f32 v62, v62, v130
	v_dual_fmac_f32 v97, 0x3f737871, v141 :: v_dual_fmac_f32 v96, 0x3f737871, v148
	v_fmac_f32_e32 v41, 0xbf737871, v70
	v_fmac_f32_e32 v49, 0x3f737871, v69
	v_dual_fmamk_f32 v58, v124, 0xbf737871, v42 :: v_dual_fmamk_f32 v57, v133, 0xbf737871, v51
	v_dual_fmac_f32 v42, 0x3f737871, v124 :: v_dual_fmac_f32 v51, 0x3f737871, v133
	v_dual_add_f32 v109, v109, v138 :: v_dual_add_f32 v128, v142, v143
	v_fmac_f32_e32 v52, 0x3f167918, v66
	v_dual_fmac_f32 v48, 0xbf167918, v66 :: v_dual_fmac_f32 v55, 0xbf167918, v69
	v_dual_fmac_f32 v40, 0xbf167918, v63 :: v_dual_fmac_f32 v53, 0xbf167918, v70
	v_dual_add_f32 v66, v135, v110 :: v_dual_fmac_f32 v59, 0xbf167918, v133
	v_fmac_f32_e32 v100, 0xbf167918, v148
	v_dual_fmac_f32 v43, 0x3f167918, v133 :: v_dual_fmac_f32 v98, 0x3f167918, v148
	v_fmac_f32_e32 v101, 0x3f167918, v141
	v_fmac_f32_e32 v95, 0xbf167918, v141
	v_dual_fmac_f32 v99, 0x3f167918, v140 :: v_dual_fmac_f32 v96, 0x3f167918, v149
	v_dual_fmac_f32 v97, 0xbf167918, v140 :: v_dual_fmac_f32 v102, 0xbf167918, v149
	;; [unrolled: 1-line block ×6, first 2 shown]
	v_add_f32_e32 v63, v67, v108
	v_dual_fmac_f32 v50, 0xbf167918, v124 :: v_dual_add_f32 v67, v123, v125
	v_dual_fmac_f32 v52, 0x3e9e377a, v155 :: v_dual_fmac_f32 v53, 0x3e9e377a, v68
	v_dual_fmac_f32 v101, 0x3e9e377a, v128 :: v_dual_fmac_f32 v102, 0x3e9e377a, v131
	v_dual_fmac_f32 v95, 0x3e9e377a, v128 :: v_dual_fmac_f32 v96, 0x3e9e377a, v131
	v_dual_fmac_f32 v99, 0x3e9e377a, v129 :: v_dual_fmac_f32 v100, 0x3e9e377a, v132
	v_dual_fmac_f32 v97, 0x3e9e377a, v129 :: v_dual_fmac_f32 v98, 0x3e9e377a, v132
	v_dual_fmac_f32 v54, 0x3e9e377a, v156 :: v_dual_fmac_f32 v55, 0x3e9e377a, v71
	v_dual_fmac_f32 v40, 0x3e9e377a, v156 :: v_dual_fmac_f32 v41, 0x3e9e377a, v71
	v_dual_fmac_f32 v48, 0x3e9e377a, v155 :: v_dual_fmac_f32 v49, 0x3e9e377a, v68
	v_dual_fmac_f32 v56, 0x3e9e377a, v126 :: v_dual_fmac_f32 v57, 0x3e9e377a, v111
	v_dual_fmac_f32 v58, 0x3e9e377a, v127 :: v_dual_fmac_f32 v59, 0x3e9e377a, v109
	v_dual_fmac_f32 v42, 0x3e9e377a, v127 :: v_dual_fmac_f32 v43, 0x3e9e377a, v109
	v_dual_fmac_f32 v50, 0x3e9e377a, v126 :: v_dual_fmac_f32 v51, 0x3e9e377a, v111
	ds_store_2addr_b64 v122, v[62:63], v[52:53] offset1:33
	ds_store_2addr_b64 v122, v[54:55], v[40:41] offset0:66 offset1:99
	ds_store_b64 v122, v[48:49] offset:1056
	ds_store_2addr_b64 v121, v[66:67], v[56:57] offset1:33
	ds_store_2addr_b64 v121, v[58:59], v[42:43] offset0:66 offset1:99
	ds_store_b64 v121, v[50:51] offset:1056
	s_and_saveexec_b32 s1, vcc_lo
	s_cbranch_execz .LBB0_9
; %bb.8:
	v_dual_add_f32 v40, v61, v107 :: v_dual_add_f32 v41, v60, v46
	s_delay_alu instid0(VALU_DEP_1) | instskip(SKIP_1) | instid1(VALU_DEP_2)
	v_dual_add_f32 v40, v40, v106 :: v_dual_add_f32 v41, v41, v47
	v_lshlrev_b32_e32 v42, 3, v120
	v_dual_add_f32 v40, v40, v104 :: v_dual_add_f32 v43, v41, v45
	s_delay_alu instid0(VALU_DEP_2) | instskip(NEXT) | instid1(VALU_DEP_2)
	v_add_nc_u32_e32 v45, 0x3000, v42
	v_dual_add_f32 v41, v40, v103 :: v_dual_add_f32 v40, v43, v44
	ds_store_2addr_b64 v45, v[99:100], v[97:98] offset0:180 offset1:213
	ds_store_2addr_b64 v45, v[40:41], v[101:102] offset0:114 offset1:147
	ds_store_b64 v42, v[95:96] offset:14256
.LBB0_9:
	s_wait_alu 0xfffe
	s_or_b32 exec_lo, exec_lo, s1
	v_mad_co_u64_u32 v[48:49], null, 0x50, v113, s[10:11]
	global_wb scope:SCOPE_SE
	s_wait_dscnt 0x0
	s_barrier_signal -1
	s_barrier_wait -1
	global_inv scope:SCOPE_SE
	s_add_nc_u64 s[8:9], s[8:9], 0x38b8
	s_clause 0x4
	global_load_b128 v[56:59], v[48:49], off offset:1232
	global_load_b128 v[52:55], v[48:49], off offset:1248
	global_load_b128 v[44:47], v[48:49], off offset:1264
	global_load_b128 v[40:43], v[48:49], off offset:1280
	global_load_b128 v[48:51], v[48:49], off offset:1296
	ds_load_2addr_b64 v[60:63], v114 offset1:165
	v_add_nc_u32_e32 v103, 0x800, v114
	s_wait_loadcnt_dscnt 0x400
	v_dual_mul_f32 v112, v62, v57 :: v_dual_add_nc_u32 v71, 0x1e00, v114
	v_mul_f32_e32 v106, v63, v57
	ds_load_2addr_b64 v[123:126], v103 offset0:74 offset1:239
	v_add_nc_u32_e32 v70, 0x1400, v114
	v_add_nc_u32_e32 v104, 0x2800, v114
	v_fmac_f32_e32 v112, v63, v56
	v_fma_f32 v150, v62, v56, -v106
	s_wait_loadcnt_dscnt 0x300
	v_mul_f32_e32 v141, v125, v53
	v_mul_f32_e32 v139, v123, v59
	ds_load_2addr_b64 v[127:130], v70 offset0:20 offset1:185
	ds_load_2addr_b64 v[131:134], v71 offset0:30 offset1:195
	;; [unrolled: 1-line block ×3, first 2 shown]
	ds_load_b64 v[110:111], v114 offset:13200
	v_mul_f32_e32 v108, v124, v59
	v_dual_mul_f32 v140, v126, v53 :: v_dual_fmac_f32 v139, v124, v58
	s_wait_loadcnt_dscnt 0x202
	v_mul_f32_e32 v145, v132, v47
	v_mul_f32_e32 v143, v127, v55
	s_wait_loadcnt_dscnt 0x101
	v_dual_mul_f32 v109, v129, v45 :: v_dual_mul_f32 v68, v135, v43
	s_wait_loadcnt_dscnt 0x0
	v_dual_mul_f32 v66, v137, v49 :: v_dual_mul_f32 v149, v111, v51
	v_mul_f32_e32 v67, v110, v51
	v_dual_mul_f32 v142, v128, v55 :: v_dual_mul_f32 v69, v133, v41
	v_dual_mul_f32 v144, v130, v45 :: v_dual_mul_f32 v107, v131, v47
	;; [unrolled: 1-line block ×3, first 2 shown]
	v_mul_f32_e32 v148, v138, v49
	v_fma_f32 v123, v123, v58, -v108
	v_dual_fmac_f32 v141, v126, v52 :: v_dual_fmac_f32 v68, v136, v42
	v_fmac_f32_e32 v109, v130, v44
	v_fma_f32 v62, v110, v50, -v149
	v_add_f32_e32 v110, v60, v150
	v_fmac_f32_e32 v67, v111, v50
	v_fma_f32 v124, v125, v52, -v140
	v_fma_f32 v125, v127, v54, -v142
	v_dual_fmac_f32 v143, v128, v54 :: v_dual_fmac_f32 v66, v138, v48
	v_fma_f32 v126, v129, v44, -v144
	v_fma_f32 v127, v131, v46, -v145
	v_dual_fmac_f32 v107, v132, v46 :: v_dual_add_f32 v136, v141, v68
	v_fma_f32 v108, v133, v40, -v146
	v_fma_f32 v106, v135, v42, -v147
	;; [unrolled: 1-line block ×3, first 2 shown]
	v_dual_add_f32 v111, v61, v112 :: v_dual_add_f32 v128, v150, v62
	v_sub_f32_e32 v130, v150, v62
	v_sub_f32_e32 v138, v141, v68
	v_fmac_f32_e32 v69, v134, v40
	v_add_f32_e32 v129, v112, v67
	v_sub_f32_e32 v112, v112, v67
	v_add_f32_e32 v110, v110, v123
	v_dual_add_f32 v131, v123, v63 :: v_dual_add_f32 v140, v125, v108
	v_dual_add_f32 v132, v139, v66 :: v_dual_add_f32 v147, v109, v107
	v_dual_sub_f32 v133, v123, v63 :: v_dual_sub_f32 v144, v125, v108
	v_dual_sub_f32 v134, v139, v66 :: v_dual_sub_f32 v149, v109, v107
	v_dual_sub_f32 v137, v124, v106 :: v_dual_add_f32 v146, v126, v127
	v_dual_sub_f32 v145, v143, v69 :: v_dual_sub_f32 v148, v126, v127
	v_dual_add_f32 v111, v111, v139 :: v_dual_mul_f32 v150, 0xbf68dda4, v112
	v_mul_f32_e32 v123, 0xbf0a6770, v112
	s_delay_alu instid0(VALU_DEP_3)
	v_dual_mul_f32 v139, 0xbf0a6770, v130 :: v_dual_mul_f32 v176, 0xbf0a6770, v145
	v_dual_mul_f32 v151, 0xbf68dda4, v130 :: v_dual_add_f32 v110, v110, v124
	v_dual_add_f32 v135, v124, v106 :: v_dual_add_f32 v142, v143, v69
	v_dual_mul_f32 v152, 0xbf7d64f0, v112 :: v_dual_mul_f32 v153, 0xbf7d64f0, v130
	v_dual_mul_f32 v154, 0xbf4178ce, v112 :: v_dual_mul_f32 v155, 0xbf4178ce, v130
	v_dual_mul_f32 v112, 0xbe903f40, v112 :: v_dual_add_f32 v111, v111, v141
	v_dual_mul_f32 v130, 0xbe903f40, v130 :: v_dual_mul_f32 v179, 0xbe903f40, v144
	v_dual_mul_f32 v156, 0xbf68dda4, v134 :: v_dual_mul_f32 v157, 0xbf68dda4, v133
	;; [unrolled: 1-line block ×13, first 2 shown]
	v_dual_mul_f32 v177, 0xbf0a6770, v144 :: v_dual_add_f32 v110, v110, v125
	v_dual_mul_f32 v178, 0xbe903f40, v145 :: v_dual_mul_f32 v181, 0xbe903f40, v148
	v_dual_mul_f32 v145, 0x3f68dda4, v145 :: v_dual_mul_f32 v144, 0x3f68dda4, v144
	v_dual_mul_f32 v180, 0xbe903f40, v149 :: v_dual_add_f32 v111, v111, v143
	v_dual_mul_f32 v182, 0x3f0a6770, v149 :: v_dual_mul_f32 v183, 0x3f0a6770, v148
	v_dual_mul_f32 v184, 0xbf4178ce, v149 :: v_dual_mul_f32 v185, 0xbf4178ce, v148
	;; [unrolled: 1-line block ×4, first 2 shown]
	v_fma_f32 v124, 0x3f575c64, v128, -v123
	v_fmamk_f32 v141, v129, 0x3f575c64, v139
	v_fmac_f32_e32 v123, 0x3f575c64, v128
	v_fma_f32 v139, 0x3f575c64, v129, -v139
	v_fma_f32 v188, 0x3ed4b147, v128, -v150
	v_dual_fmamk_f32 v189, v129, 0x3ed4b147, v151 :: v_dual_fmac_f32 v150, 0x3ed4b147, v128
	v_fma_f32 v151, 0x3ed4b147, v129, -v151
	v_fma_f32 v190, 0xbe11bafb, v128, -v152
	v_dual_fmamk_f32 v191, v129, 0xbe11bafb, v153 :: v_dual_fmac_f32 v152, 0xbe11bafb, v128
	;; [unrolled: 3-line block ×3, first 2 shown]
	v_fma_f32 v155, 0xbf27a4f4, v129, -v155
	v_fma_f32 v194, 0xbf75a155, v128, -v112
	v_fmamk_f32 v195, v129, 0xbf75a155, v130
	v_dual_fmac_f32 v112, 0xbf75a155, v128 :: v_dual_fmamk_f32 v199, v132, 0xbf75a155, v161
	v_fma_f32 v128, 0xbf75a155, v129, -v130
	v_fma_f32 v129, 0x3ed4b147, v131, -v156
	v_dual_fmamk_f32 v130, v132, 0x3ed4b147, v157 :: v_dual_fmamk_f32 v219, v142, 0x3ed4b147, v144
	v_dual_fmac_f32 v156, 0x3ed4b147, v131 :: v_dual_fmamk_f32 v207, v136, 0x3ed4b147, v169
	v_fma_f32 v157, 0x3ed4b147, v132, -v157
	v_fma_f32 v196, 0xbf27a4f4, v131, -v158
	v_dual_fmamk_f32 v197, v132, 0xbf27a4f4, v159 :: v_dual_fmac_f32 v158, 0xbf27a4f4, v131
	v_fma_f32 v159, 0xbf27a4f4, v132, -v159
	v_fma_f32 v198, 0xbf75a155, v131, -v160
	v_dual_fmac_f32 v160, 0xbf75a155, v131 :: v_dual_fmamk_f32 v205, v136, 0xbf75a155, v167
	v_fma_f32 v161, 0xbf75a155, v132, -v161
	v_fma_f32 v200, 0xbe11bafb, v131, -v162
	v_dual_fmamk_f32 v201, v132, 0xbe11bafb, v163 :: v_dual_fmac_f32 v162, 0xbe11bafb, v131
	v_fma_f32 v163, 0xbe11bafb, v132, -v163
	v_fma_f32 v202, 0x3f575c64, v131, -v134
	v_dual_fmamk_f32 v203, v132, 0x3f575c64, v133 :: v_dual_fmac_f32 v134, 0x3f575c64, v131
	;; [unrolled: 3-line block ×3, first 2 shown]
	v_fma_f32 v165, 0xbe11bafb, v136, -v165
	v_fma_f32 v204, 0xbf75a155, v135, -v166
	v_dual_fmac_f32 v166, 0xbf75a155, v135 :: v_dual_fmamk_f32 v217, v142, 0xbf75a155, v179
	v_fma_f32 v167, 0xbf75a155, v136, -v167
	v_fma_f32 v206, 0x3ed4b147, v135, -v168
	v_fmac_f32_e32 v168, 0x3ed4b147, v135
	v_fma_f32 v169, 0x3ed4b147, v136, -v169
	v_fma_f32 v208, 0x3f575c64, v135, -v170
	v_dual_fmamk_f32 v209, v136, 0x3f575c64, v171 :: v_dual_fmac_f32 v170, 0x3f575c64, v135
	v_fma_f32 v171, 0x3f575c64, v136, -v171
	v_fma_f32 v210, 0xbf27a4f4, v135, -v138
	v_dual_fmamk_f32 v211, v136, 0xbf27a4f4, v137 :: v_dual_fmac_f32 v138, 0xbf27a4f4, v135
	;; [unrolled: 3-line block ×4, first 2 shown]
	v_fma_f32 v175, 0xbe11bafb, v142, -v175
	v_fma_f32 v214, 0x3f575c64, v140, -v176
	v_dual_fmamk_f32 v215, v142, 0x3f575c64, v177 :: v_dual_add_f32 v124, v60, v124
	v_fmac_f32_e32 v176, 0x3f575c64, v140
	v_fma_f32 v177, 0x3f575c64, v142, -v177
	v_fma_f32 v216, 0xbf75a155, v140, -v178
	v_dual_fmac_f32 v178, 0xbf75a155, v140 :: v_dual_add_f32 v125, v61, v141
	v_fma_f32 v179, 0xbf75a155, v142, -v179
	v_fma_f32 v218, 0x3ed4b147, v140, -v145
	v_fmac_f32_e32 v145, 0x3ed4b147, v140
	v_fma_f32 v140, 0x3ed4b147, v142, -v144
	v_fma_f32 v142, 0xbf75a155, v146, -v180
	v_fmamk_f32 v144, v147, 0xbf75a155, v181
	v_dual_fmac_f32 v180, 0xbf75a155, v146 :: v_dual_add_f32 v123, v60, v123
	v_fma_f32 v181, 0xbf75a155, v147, -v181
	v_fma_f32 v220, 0x3f575c64, v146, -v182
	v_dual_fmamk_f32 v221, v147, 0x3f575c64, v183 :: v_dual_fmac_f32 v182, 0x3f575c64, v146
	v_fma_f32 v183, 0x3f575c64, v147, -v183
	v_fma_f32 v222, 0xbf27a4f4, v146, -v184
	v_dual_fmamk_f32 v223, v147, 0xbf27a4f4, v185 :: v_dual_fmac_f32 v184, 0xbf27a4f4, v146
	;; [unrolled: 3-line block ×3, first 2 shown]
	v_fma_f32 v187, 0x3ed4b147, v147, -v187
	v_fma_f32 v226, 0xbe11bafb, v146, -v149
	v_fmamk_f32 v227, v147, 0xbe11bafb, v148
	v_dual_fmac_f32 v149, 0xbe11bafb, v146 :: v_dual_add_f32 v152, v60, v152
	v_fma_f32 v146, 0xbe11bafb, v147, -v148
	v_add_f32_e32 v139, v61, v139
	v_dual_add_f32 v141, v60, v188 :: v_dual_add_f32 v110, v110, v126
	v_dual_add_f32 v143, v61, v189 :: v_dual_add_f32 v154, v60, v154
	;; [unrolled: 1-line block ×5, first 2 shown]
	v_add_f32_e32 v188, v60, v192
	v_dual_add_f32 v60, v60, v112 :: v_dual_add_f32 v155, v61, v155
	v_add_f32_e32 v191, v61, v195
	v_add_f32_e32 v109, v111, v109
	v_dual_add_f32 v111, v129, v124 :: v_dual_add_f32 v110, v110, v127
	v_add_f32_e32 v112, v130, v125
	v_add_f32_e32 v189, v61, v193
	v_add_f32_e32 v61, v61, v128
	v_dual_add_f32 v124, v157, v139 :: v_dual_add_f32 v125, v196, v141
	v_add_f32_e32 v126, v197, v143
	v_add_f32_e32 v128, v158, v147
	;; [unrolled: 1-line block ×3, first 2 shown]
	v_dual_add_f32 v129, v159, v148 :: v_dual_add_f32 v130, v198, v150
	v_dual_add_f32 v139, v199, v151 :: v_dual_add_f32 v60, v134, v60
	v_add_f32_e32 v141, v160, v152
	v_add_f32_e32 v143, v161, v153
	v_add_f32_e32 v148, v201, v189
	v_dual_add_f32 v150, v162, v154 :: v_dual_add_f32 v147, v200, v188
	v_dual_add_f32 v151, v163, v155 :: v_dual_add_f32 v152, v202, v190
	;; [unrolled: 1-line block ×7, first 2 shown]
	s_delay_alu instid0(VALU_DEP_3) | instskip(NEXT) | instid1(VALU_DEP_3)
	v_dual_add_f32 v110, v172, v112 :: v_dual_add_f32 v153, v203, v191
	v_dual_add_f32 v127, v167, v129 :: v_dual_add_f32 v112, v212, v124
	;; [unrolled: 1-line block ×3, first 2 shown]
	v_add_f32_e32 v130, v168, v141
	v_dual_add_f32 v134, v170, v150 :: v_dual_add_f32 v61, v131, v61
	v_dual_add_f32 v132, v208, v147 :: v_dual_add_f32 v141, v210, v152
	v_add_f32_e32 v138, v108, v106
	v_dual_add_f32 v124, v174, v126 :: v_dual_add_f32 v131, v169, v143
	v_add_f32_e32 v133, v209, v148
	v_add_f32_e32 v69, v107, v69
	s_delay_alu instid0(VALU_DEP_3)
	v_dual_add_f32 v107, v136, v109 :: v_dual_add_f32 v108, v182, v124
	v_add_f32_e32 v61, v135, v61
	v_dual_add_f32 v109, v137, v111 :: v_dual_add_f32 v106, v220, v112
	v_add_f32_e32 v126, v214, v128
	;; [unrolled: 2-line block ×3, first 2 shown]
	v_add_f32_e32 v125, v175, v127
	v_add_f32_e32 v127, v215, v129
	;; [unrolled: 1-line block ×3, first 2 shown]
	v_dual_add_f32 v129, v216, v132 :: v_dual_add_f32 v132, v178, v134
	v_dual_add_f32 v134, v218, v141 :: v_dual_add_f32 v139, v171, v151
	v_add_f32_e32 v130, v217, v133
	v_dual_add_f32 v143, v211, v153 :: v_dual_add_f32 v136, v145, v60
	v_dual_add_f32 v60, v142, v107 :: v_dual_add_f32 v137, v140, v61
	s_delay_alu instid0(VALU_DEP_4) | instskip(SKIP_1) | instid1(VALU_DEP_4)
	v_add_f32_e32 v133, v179, v139
	v_add_f32_e32 v139, v69, v68
	v_dual_add_f32 v135, v219, v143 :: v_dual_add_f32 v68, v180, v110
	v_add_f32_e32 v110, v222, v126
	v_add_f32_e32 v126, v225, v130
	s_delay_alu instid0(VALU_DEP_4) | instskip(SKIP_2) | instid1(VALU_DEP_3)
	v_add_f32_e32 v112, v139, v66
	v_dual_add_f32 v130, v146, v137 :: v_dual_add_f32 v131, v177, v131
	v_dual_add_f32 v61, v144, v109 :: v_dual_add_f32 v62, v63, v62
	v_add_f32_e32 v63, v112, v67
	v_add_f32_e32 v69, v181, v111
	v_dual_add_f32 v107, v221, v123 :: v_dual_add_f32 v66, v226, v134
	v_add_f32_e32 v111, v223, v127
	v_add_f32_e32 v109, v183, v125
	;; [unrolled: 1-line block ×5, first 2 shown]
	v_dual_add_f32 v127, v186, v132 :: v_dual_add_f32 v128, v187, v133
	v_add_f32_e32 v129, v149, v136
	v_add_f32_e32 v124, v185, v131
	ds_store_2addr_b64 v114, v[62:63], v[60:61] offset1:165
	ds_store_2addr_b64 v103, v[106:107], v[110:111] offset0:74 offset1:239
	ds_store_2addr_b64 v70, v[125:126], v[66:67] offset0:20 offset1:185
	;; [unrolled: 1-line block ×4, first 2 shown]
	ds_store_b64 v114, v[68:69] offset:13200
	global_wb scope:SCOPE_SE
	s_wait_dscnt 0x0
	s_barrier_signal -1
	s_barrier_wait -1
	global_inv scope:SCOPE_SE
	s_clause 0xa
	global_load_b64 v[64:65], v[64:65], off offset:14520
	global_load_b64 v[66:67], v114, s[8:9] offset:1320
	global_load_b64 v[68:69], v114, s[8:9] offset:2640
	;; [unrolled: 1-line block ×10, first 2 shown]
	ds_load_2addr_b64 v[60:63], v114 offset1:165
	s_wait_loadcnt_dscnt 0xa00
	v_mul_f32_e32 v106, v61, v65
	s_wait_loadcnt 0x9
	v_dual_mul_f32 v107, v60, v65 :: v_dual_mul_f32 v108, v63, v67
	v_mul_f32_e32 v65, v62, v67
	s_delay_alu instid0(VALU_DEP_3) | instskip(NEXT) | instid1(VALU_DEP_3)
	v_fma_f32 v106, v60, v64, -v106
	v_fmac_f32_e32 v107, v61, v64
	s_delay_alu instid0(VALU_DEP_4) | instskip(NEXT) | instid1(VALU_DEP_4)
	v_fma_f32 v64, v62, v66, -v108
	v_fmac_f32_e32 v65, v63, v66
	ds_store_2addr_b64 v114, v[106:107], v[64:65] offset1:165
	ds_load_2addr_b64 v[60:63], v103 offset0:74 offset1:239
	ds_load_2addr_b64 v[64:67], v70 offset0:20 offset1:185
	;; [unrolled: 1-line block ×4, first 2 shown]
	ds_load_b64 v[141:142], v114 offset:13200
	s_wait_loadcnt_dscnt 0x804
	v_mul_f32_e32 v112, v60, v69
	s_wait_loadcnt_dscnt 0x603
	v_mul_f32_e32 v146, v65, v128
	s_wait_loadcnt 0x5
	v_dual_mul_f32 v144, v64, v128 :: v_dual_mul_f32 v147, v67, v130
	v_mul_f32_e32 v128, v66, v130
	s_wait_loadcnt_dscnt 0x402
	v_mul_f32_e32 v148, v107, v132
	v_mul_f32_e32 v130, v106, v132
	v_fmac_f32_e32 v144, v65, v127
	s_wait_loadcnt 0x3
	v_mul_f32_e32 v149, v109, v134
	v_dual_mul_f32 v132, v108, v134 :: v_dual_mul_f32 v145, v63, v111
	s_wait_loadcnt_dscnt 0x201
	v_mul_f32_e32 v150, v124, v136
	s_wait_loadcnt 0x1
	v_dual_mul_f32 v134, v123, v136 :: v_dual_mul_f32 v151, v126, v138
	v_mul_f32_e32 v136, v125, v138
	s_wait_loadcnt_dscnt 0x0
	v_mul_f32_e32 v138, v141, v140
	v_mul_f32_e32 v143, v61, v69
	;; [unrolled: 1-line block ×4, first 2 shown]
	v_fmac_f32_e32 v112, v61, v68
	v_fmac_f32_e32 v132, v109, v133
	v_fmac_f32_e32 v138, v142, v139
	v_fma_f32 v111, v60, v68, -v143
	v_fma_f32 v68, v62, v110, -v145
	v_fmac_f32_e32 v69, v63, v110
	v_fma_f32 v143, v64, v127, -v146
	v_fma_f32 v127, v66, v129, -v147
	v_fmac_f32_e32 v128, v67, v129
	v_fma_f32 v129, v106, v131, -v148
	v_fmac_f32_e32 v130, v107, v131
	v_fmac_f32_e32 v136, v126, v137
	v_fma_f32 v131, v108, v133, -v149
	v_fma_f32 v133, v123, v135, -v150
	v_fmac_f32_e32 v134, v124, v135
	v_fma_f32 v135, v125, v137, -v151
	v_fma_f32 v137, v141, v139, -v152
	ds_store_2addr_b64 v103, v[111:112], v[68:69] offset0:74 offset1:239
	ds_store_2addr_b64 v70, v[143:144], v[127:128] offset0:20 offset1:185
	ds_store_2addr_b64 v71, v[129:130], v[131:132] offset0:30 offset1:195
	ds_store_2addr_b64 v104, v[133:134], v[135:136] offset0:40 offset1:205
	ds_store_b64 v114, v[137:138] offset:13200
	global_wb scope:SCOPE_SE
	s_wait_dscnt 0x0
	s_barrier_signal -1
	s_barrier_wait -1
	global_inv scope:SCOPE_SE
	ds_load_2addr_b64 v[64:67], v114 offset1:165
	ds_load_b64 v[68:69], v114 offset:13200
	ds_load_2addr_b64 v[106:109], v103 offset0:74 offset1:239
	ds_load_2addr_b64 v[60:63], v104 offset0:40 offset1:205
	;; [unrolled: 1-line block ×4, first 2 shown]
	v_add_nc_u32_e32 v131, 0x1200, v114
	v_add_nc_u32_e32 v132, 0x2400, v114
	global_wb scope:SCOPE_SE
	s_wait_dscnt 0x0
	s_barrier_signal -1
	s_barrier_wait -1
	global_inv scope:SCOPE_SE
	v_dual_add_f32 v70, v64, v66 :: v_dual_add_f32 v71, v65, v67
	v_dual_add_f32 v104, v69, v67 :: v_dual_sub_f32 v67, v67, v69
	v_add_f32_e32 v110, v62, v106
	v_dual_add_f32 v103, v68, v66 :: v_dual_add_f32 v138, v129, v123
	v_dual_add_f32 v111, v63, v107 :: v_dual_sub_f32 v112, v106, v62
	v_dual_sub_f32 v133, v107, v63 :: v_dual_sub_f32 v136, v108, v60
	v_dual_add_f32 v135, v61, v109 :: v_dual_add_f32 v70, v70, v106
	v_dual_sub_f32 v137, v109, v61 :: v_dual_mul_f32 v106, 0xbf0a6770, v67
	v_dual_sub_f32 v141, v124, v130 :: v_dual_add_f32 v142, v127, v125
	v_dual_sub_f32 v145, v126, v128 :: v_dual_mul_f32 v146, 0xbf68dda4, v67
	v_mul_f32_e32 v148, 0xbf7d64f0, v67
	v_mul_f32_e32 v150, 0xbf4178ce, v67
	s_delay_alu instid0(VALU_DEP_4)
	v_dual_mul_f32 v67, 0xbe903f40, v67 :: v_dual_mul_f32 v174, 0xbe903f40, v141
	v_sub_f32_e32 v66, v66, v68
	v_dual_add_f32 v134, v60, v108 :: v_dual_add_f32 v71, v71, v107
	v_mul_f32_e32 v107, 0x3f575c64, v104
	v_dual_mul_f32 v147, 0x3ed4b147, v104 :: v_dual_fmamk_f32 v184, v103, 0x3ed4b147, v146
	v_mul_f32_e32 v152, 0xbf68dda4, v133
	v_dual_mul_f32 v153, 0x3ed4b147, v111 :: v_dual_add_f32 v70, v70, v108
	v_dual_mul_f32 v157, 0xbf75a155, v111 :: v_dual_fmamk_f32 v190, v103, 0xbf75a155, v67
	v_mul_f32_e32 v162, 0x3e903f40, v137
	v_dual_mul_f32 v164, 0x3f68dda4, v137 :: v_dual_fmamk_f32 v185, v66, 0x3f68dda4, v147
	s_delay_alu instid0(VALU_DEP_3)
	v_dual_mul_f32 v176, 0xbe903f40, v145 :: v_dual_fmamk_f32 v195, v112, 0xbe903f40, v157
	v_mul_f32_e32 v180, 0xbf4178ce, v145
	v_mul_f32_e32 v182, 0x3f68dda4, v145
	v_fmamk_f32 v108, v103, 0x3f575c64, v106
	v_mul_f32_e32 v166, 0xbf0a6770, v137
	v_mul_f32_e32 v178, 0x3f0a6770, v145
	;; [unrolled: 1-line block ×3, first 2 shown]
	v_dual_mul_f32 v149, 0xbe11bafb, v104 :: v_dual_fmamk_f32 v186, v103, 0xbe11bafb, v148
	v_mul_f32_e32 v158, 0x3f7d64f0, v133
	v_mul_f32_e32 v160, 0xbf7d64f0, v137
	;; [unrolled: 1-line block ×3, first 2 shown]
	v_dual_mul_f32 v151, 0xbf27a4f4, v104 :: v_dual_fmamk_f32 v188, v103, 0xbf27a4f4, v150
	v_mul_f32_e32 v104, 0xbf75a155, v104
	v_mul_f32_e32 v154, 0xbf4178ce, v133
	;; [unrolled: 1-line block ×3, first 2 shown]
	v_dual_mul_f32 v133, 0x3f0a6770, v133 :: v_dual_add_f32 v70, v70, v123
	v_dual_add_f32 v139, v130, v124 :: v_dual_sub_f32 v140, v123, v129
	v_dual_add_f32 v143, v128, v126 :: v_dual_sub_f32 v144, v125, v127
	v_mul_f32_e32 v165, 0x3ed4b147, v135
	v_add_f32_e32 v71, v71, v109
	v_fmamk_f32 v109, v66, 0x3f0a6770, v107
	v_fma_f32 v106, 0x3f575c64, v103, -v106
	v_fmac_f32_e32 v107, 0xbf0a6770, v66
	v_dual_mul_f32 v167, 0x3f575c64, v135 :: v_dual_fmamk_f32 v204, v134, 0x3f575c64, v166
	v_fmac_f32_e32 v147, 0xbf68dda4, v66
	v_fmamk_f32 v187, v66, 0x3f7d64f0, v149
	v_dual_mul_f32 v159, 0xbe11bafb, v111 :: v_dual_fmamk_f32 v196, v110, 0xbe11bafb, v158
	v_mul_f32_e32 v170, 0x3f7d64f0, v141
	v_fmac_f32_e32 v149, 0xbf7d64f0, v66
	v_mul_f32_e32 v161, 0xbe11bafb, v135
	v_dual_fmamk_f32 v189, v66, 0x3f4178ce, v151 :: v_dual_add_f32 v106, v64, v106
	v_fma_f32 v150, 0xbf27a4f4, v103, -v150
	v_fmac_f32_e32 v151, 0xbf4178ce, v66
	v_dual_mul_f32 v155, 0xbf27a4f4, v111 :: v_dual_fmamk_f32 v192, v110, 0xbf27a4f4, v154
	v_dual_mul_f32 v111, 0x3f575c64, v111 :: v_dual_fmamk_f32 v198, v110, 0x3f575c64, v133
	v_mul_f32_e32 v168, 0xbf4178ce, v141
	v_mul_f32_e32 v172, 0xbf0a6770, v141
	v_dual_mul_f32 v141, 0x3f68dda4, v141 :: v_dual_add_f32 v108, v64, v108
	v_fmamk_f32 v191, v66, 0x3e903f40, v104
	v_dual_mul_f32 v163, 0xbf75a155, v135 :: v_dual_fmamk_f32 v194, v110, 0xbf75a155, v156
	v_dual_mul_f32 v135, 0xbf27a4f4, v135 :: v_dual_fmamk_f32 v206, v134, 0xbf27a4f4, v137
	v_fmac_f32_e32 v104, 0xbe903f40, v66
	v_fmamk_f32 v66, v110, 0x3ed4b147, v152
	v_dual_mul_f32 v177, 0xbf75a155, v143 :: v_dual_fmamk_f32 v212, v138, 0xbf75a155, v174
	v_dual_mul_f32 v179, 0x3f575c64, v143 :: v_dual_fmamk_f32 v216, v142, 0x3f575c64, v178
	;; [unrolled: 1-line block ×3, first 2 shown]
	v_fma_f32 v146, 0x3ed4b147, v103, -v146
	v_fma_f32 v148, 0xbe11bafb, v103, -v148
	;; [unrolled: 1-line block ×3, first 2 shown]
	v_fmamk_f32 v103, v112, 0x3f68dda4, v153
	v_fmac_f32_e32 v153, 0xbf68dda4, v112
	v_fma_f32 v154, 0xbf27a4f4, v110, -v154
	v_fmac_f32_e32 v157, 0x3e903f40, v112
	v_dual_fmamk_f32 v197, v112, 0xbf7d64f0, v159 :: v_dual_add_f32 v66, v66, v108
	v_fma_f32 v158, 0xbe11bafb, v110, -v158
	v_fmac_f32_e32 v159, 0x3f7d64f0, v112
	v_dual_mul_f32 v171, 0xbe11bafb, v139 :: v_dual_fmamk_f32 v208, v138, 0xbe11bafb, v170
	v_fmamk_f32 v199, v112, 0xbf0a6770, v111
	v_fmac_f32_e32 v111, 0x3f0a6770, v112
	v_fmamk_f32 v201, v136, 0xbe903f40, v163
	v_dual_fmac_f32 v163, 0x3e903f40, v136 :: v_dual_add_f32 v150, v64, v150
	v_fmamk_f32 v207, v136, 0x3f4178ce, v135
	v_fmac_f32_e32 v135, 0xbf4178ce, v136
	v_dual_mul_f32 v181, 0xbf27a4f4, v143 :: v_dual_fmamk_f32 v218, v142, 0xbf27a4f4, v180
	v_dual_mul_f32 v143, 0xbe11bafb, v143 :: v_dual_fmamk_f32 v222, v142, 0xbe11bafb, v145
	v_dual_fmamk_f32 v220, v142, 0x3ed4b147, v182 :: v_dual_add_f32 v71, v71, v124
	v_fmamk_f32 v193, v112, 0x3f4178ce, v155
	v_fmac_f32_e32 v155, 0xbf4178ce, v112
	v_fmamk_f32 v112, v134, 0xbe11bafb, v160
	v_mul_f32_e32 v169, 0xbf27a4f4, v139
	v_dual_mul_f32 v173, 0x3f575c64, v139 :: v_dual_fmamk_f32 v210, v138, 0x3f575c64, v172
	v_dual_mul_f32 v175, 0xbf75a155, v139 :: v_dual_fmamk_f32 v200, v134, 0xbf75a155, v162
	;; [unrolled: 1-line block ×3, first 2 shown]
	v_fma_f32 v152, 0x3ed4b147, v110, -v152
	v_fma_f32 v156, 0xbf75a155, v110, -v156
	;; [unrolled: 1-line block ×5, first 2 shown]
	v_fmamk_f32 v203, v136, 0xbf68dda4, v165
	v_fma_f32 v164, 0x3ed4b147, v134, -v164
	v_fmac_f32_e32 v165, 0x3f68dda4, v136
	v_fma_f32 v166, 0x3f575c64, v134, -v166
	v_fma_f32 v134, 0xbf27a4f4, v134, -v137
	;; [unrolled: 1-line block ×5, first 2 shown]
	v_fmamk_f32 v217, v144, 0xbf0a6770, v179
	v_fmamk_f32 v219, v144, 0x3f4178ce, v181
	v_fmac_f32_e32 v181, 0xbf4178ce, v144
	v_fmamk_f32 v221, v144, 0xbf68dda4, v183
	v_fmac_f32_e32 v183, 0x3f68dda4, v144
	;; [unrolled: 2-line block ×3, first 2 shown]
	v_dual_add_f32 v109, v65, v109 :: v_dual_add_f32 v148, v64, v148
	v_add_f32_e32 v107, v65, v107
	v_dual_add_f32 v123, v64, v184 :: v_dual_add_f32 v124, v65, v185
	v_add_f32_e32 v149, v65, v149
	v_fmamk_f32 v205, v136, 0x3f0a6770, v167
	v_fmac_f32_e32 v167, 0xbf0a6770, v136
	v_add_f32_e32 v184, v64, v188
	v_fmamk_f32 v133, v136, 0x3f7d64f0, v161
	v_fmac_f32_e32 v161, 0xbf7d64f0, v136
	v_fmamk_f32 v136, v138, 0xbf27a4f4, v168
	v_fma_f32 v168, 0xbf27a4f4, v138, -v168
	v_fma_f32 v138, 0x3ed4b147, v138, -v141
	v_fmamk_f32 v141, v144, 0x3e903f40, v177
	v_fmac_f32_e32 v177, 0xbe903f40, v144
	v_dual_fmac_f32 v179, 0x3f0a6770, v144 :: v_dual_add_f32 v144, v64, v146
	v_add_f32_e32 v146, v64, v186
	v_add_f32_e32 v186, v64, v190
	;; [unrolled: 1-line block ×3, first 2 shown]
	v_fmamk_f32 v209, v140, 0xbf7d64f0, v171
	v_dual_fmac_f32 v171, 0x3f7d64f0, v140 :: v_dual_add_f32 v66, v112, v66
	v_fmamk_f32 v137, v140, 0x3f4178ce, v169
	v_fmac_f32_e32 v169, 0xbf4178ce, v140
	v_dual_add_f32 v108, v154, v144 :: v_dual_fmamk_f32 v215, v140, 0xbf68dda4, v139
	s_delay_alu instid0(VALU_DEP_4) | instskip(SKIP_3) | instid1(VALU_DEP_3)
	v_dual_add_f32 v66, v136, v66 :: v_dual_add_f32 v67, v70, v125
	v_dual_add_f32 v70, v71, v126 :: v_dual_fmamk_f32 v211, v140, 0x3f0a6770, v173
	v_add_f32_e32 v125, v156, v148
	v_fmac_f32_e32 v139, 0x3f68dda4, v140
	v_dual_add_f32 v67, v67, v127 :: v_dual_add_f32 v70, v70, v128
	v_fmamk_f32 v213, v140, 0x3e903f40, v175
	s_delay_alu instid0(VALU_DEP_4)
	v_add_f32_e32 v112, v164, v125
	v_fma_f32 v178, 0x3f575c64, v142, -v178
	v_fma_f32 v180, 0xbf27a4f4, v142, -v180
	v_dual_add_f32 v70, v70, v130 :: v_dual_add_f32 v71, v103, v109
	v_add_f32_e32 v103, v152, v106
	v_dual_add_f32 v106, v192, v123 :: v_dual_fmac_f32 v173, 0xbf0a6770, v140
	v_fma_f32 v182, 0x3ed4b147, v142, -v182
	v_dual_add_f32 v185, v65, v189 :: v_dual_add_f32 v112, v172, v112
	v_add_f32_e32 v123, v194, v146
	v_fmac_f32_e32 v175, 0xbe903f40, v140
	v_fmamk_f32 v140, v142, 0xbf75a155, v176
	v_fma_f32 v176, 0xbf75a155, v142, -v176
	v_fma_f32 v142, 0xbe11bafb, v142, -v145
	v_add_f32_e32 v145, v65, v147
	v_dual_add_f32 v147, v65, v187 :: v_dual_add_f32 v144, v196, v184
	v_dual_add_f32 v106, v200, v106 :: v_dual_add_f32 v67, v67, v129
	;; [unrolled: 1-line block ×5, first 2 shown]
	v_add_f32_e32 v104, v153, v107
	v_dual_add_f32 v106, v208, v106 :: v_dual_add_f32 v107, v193, v124
	v_add_f32_e32 v124, v195, v147
	v_add_f32_e32 v136, v67, v60
	v_dual_add_f32 v65, v111, v65 :: v_dual_add_f32 v130, v170, v108
	s_delay_alu instid0(VALU_DEP_3)
	v_dual_add_f32 v110, v210, v110 :: v_dual_add_f32 v111, v203, v124
	v_add_f32_e32 v124, v204, v144
	v_dual_add_f32 v126, v157, v149 :: v_dual_add_f32 v149, v199, v187
	v_dual_add_f32 v62, v136, v62 :: v_dual_add_f32 v109, v155, v145
	v_add_f32_e32 v145, v197, v185
	v_add_f32_e32 v104, v161, v104
	;; [unrolled: 1-line block ×3, first 2 shown]
	s_delay_alu instid0(VALU_DEP_4) | instskip(NEXT) | instid1(VALU_DEP_4)
	v_dual_add_f32 v62, v62, v68 :: v_dual_add_f32 v65, v135, v65
	v_dual_add_f32 v125, v205, v145 :: v_dual_add_f32 v66, v218, v110
	;; [unrolled: 1-line block ×3, first 2 shown]
	s_delay_alu instid0(VALU_DEP_3) | instskip(SKIP_4) | instid1(VALU_DEP_4)
	v_add_f32_e32 v135, v139, v65
	v_add_f32_e32 v123, v165, v126
	v_add_f32_e32 v148, v198, v186
	v_add_f32_e32 v64, v134, v64
	v_dual_add_f32 v104, v169, v104 :: v_dual_add_f32 v109, v171, v109
	v_dual_add_f32 v134, v173, v123 :: v_dual_add_f32 v123, v212, v124
	;; [unrolled: 1-line block ×3, first 2 shown]
	v_add_f32_e32 v126, v166, v146
	v_add_f32_e32 v128, v206, v148
	;; [unrolled: 1-line block ×3, first 2 shown]
	s_delay_alu instid0(VALU_DEP_4) | instskip(SKIP_4) | instid1(VALU_DEP_3)
	v_add_f32_e32 v110, v221, v124
	v_add_f32_e32 v71, v133, v71
	;; [unrolled: 1-line block ×4, first 2 shown]
	v_dual_add_f32 v104, v179, v109 :: v_dual_add_f32 v103, v160, v103
	v_dual_add_f32 v125, v174, v126 :: v_dual_add_f32 v126, v175, v127
	s_delay_alu instid0(VALU_DEP_3)
	v_dual_add_f32 v127, v214, v128 :: v_dual_add_f32 v128, v215, v133
	v_dual_add_f32 v133, v138, v64 :: v_dual_add_f32 v64, v216, v106
	v_add_f32_e32 v107, v201, v107
	v_add_f32_e32 v71, v137, v71
	;; [unrolled: 1-line block ×5, first 2 shown]
	v_dual_add_f32 v129, v209, v107 :: v_dual_add_f32 v70, v180, v112
	s_delay_alu instid0(VALU_DEP_4) | instskip(NEXT) | instid1(VALU_DEP_4)
	v_add_f32_e32 v63, v137, v63
	v_add_f32_e32 v67, v219, v111
	;; [unrolled: 1-line block ×3, first 2 shown]
	v_dual_add_f32 v111, v182, v125 :: v_dual_add_f32 v112, v183, v126
	v_dual_add_f32 v123, v222, v127 :: v_dual_add_f32 v124, v223, v128
	;; [unrolled: 1-line block ×3, first 2 shown]
	v_add_f32_e32 v61, v141, v71
	v_add_f32_e32 v107, v176, v103
	;; [unrolled: 1-line block ×6, first 2 shown]
	ds_store_2addr_b64 v105, v[109:110], v[123:124] offset0:4 offset1:5
	ds_store_2addr_b64 v105, v[125:126], v[111:112] offset0:6 offset1:7
	;; [unrolled: 1-line block ×3, first 2 shown]
	ds_store_b64 v105, v[107:108] offset:80
	ds_store_2addr_b64 v105, v[64:65], v[66:67] offset0:2 offset1:3
	ds_store_2addr_b64 v105, v[62:63], v[60:61] offset1:1
	global_wb scope:SCOPE_SE
	s_wait_dscnt 0x0
	s_barrier_signal -1
	s_barrier_wait -1
	global_inv scope:SCOPE_SE
	ds_load_2addr_b64 v[60:63], v114 offset1:165
	ds_load_2addr_b64 v[68:71], v131 offset0:29 offset1:194
	ds_load_2addr_b64 v[64:67], v132 offset0:58 offset1:223
	ds_load_b64 v[105:106], v114 offset:2640
	ds_load_b64 v[111:112], v114 offset:7480
	;; [unrolled: 1-line block ×3, first 2 shown]
	s_and_saveexec_b32 s1, s0
	s_cbranch_execz .LBB0_11
; %bb.10:
	ds_load_b64 v[103:104], v114 offset:3960
	ds_load_b64 v[107:108], v114 offset:8800
	;; [unrolled: 1-line block ×3, first 2 shown]
.LBB0_11:
	s_wait_alu 0xfffe
	s_or_b32 exec_lo, exec_lo, s1
	s_wait_dscnt 0x3
	v_mul_f32_e32 v124, v23, v65
	v_mul_f32_e32 v23, v23, v64
	;; [unrolled: 1-line block ×3, first 2 shown]
	global_wb scope:SCOPE_SE
	s_wait_dscnt 0x0
	s_barrier_signal -1
	v_fmac_f32_e32 v124, v22, v64
	v_fma_f32 v22, v22, v65, -v23
	v_dual_mul_f32 v23, v19, v67 :: v_dual_mul_f32 v64, v13, v112
	v_mul_f32_e32 v21, v21, v68
	v_fmac_f32_e32 v123, v20, v68
	v_mul_f32_e32 v19, v19, v66
	s_delay_alu instid0(VALU_DEP_4) | instskip(NEXT) | instid1(VALU_DEP_4)
	v_dual_fmac_f32 v23, v18, v66 :: v_dual_fmac_f32 v64, v12, v111
	v_fma_f32 v20, v20, v69, -v21
	v_dual_mul_f32 v21, v17, v71 :: v_dual_mul_f32 v66, v15, v110
	v_mul_f32_e32 v17, v17, v70
	v_mul_f32_e32 v15, v15, v109
	s_barrier_wait -1
	s_delay_alu instid0(VALU_DEP_3) | instskip(NEXT) | instid1(VALU_DEP_3)
	v_dual_fmac_f32 v21, v16, v70 :: v_dual_fmac_f32 v66, v14, v109
	v_fma_f32 v65, v16, v71, -v17
	v_mul_f32_e32 v16, v13, v111
	v_mul_f32_e32 v13, v9, v108
	v_fma_f32 v68, v14, v110, -v15
	v_add_f32_e32 v15, v60, v123
	v_dual_mul_f32 v9, v9, v107 :: v_dual_mul_f32 v14, v11, v101
	s_delay_alu instid0(VALU_DEP_4) | instskip(SKIP_4) | instid1(VALU_DEP_1)
	v_fmac_f32_e32 v13, v8, v107
	global_inv scope:SCOPE_SE
	v_add_f32_e32 v17, v61, v20
	v_fma_f32 v9, v8, v108, -v9
	v_mul_f32_e32 v8, v11, v102
	v_fmac_f32_e32 v8, v10, v101
	v_fma_f32 v19, v18, v67, -v19
	v_fma_f32 v67, v12, v112, -v16
	v_add_f32_e32 v12, v123, v124
	v_fma_f32 v10, v10, v102, -v14
	v_dual_add_f32 v14, v15, v124 :: v_dual_add_f32 v15, v20, v22
	v_add_f32_e32 v18, v21, v23
	s_delay_alu instid0(VALU_DEP_4) | instskip(SKIP_3) | instid1(VALU_DEP_3)
	v_fma_f32 v11, -0.5, v12, v60
	v_sub_f32_e32 v12, v20, v22
	v_sub_f32_e32 v20, v123, v124
	;; [unrolled: 1-line block ×3, first 2 shown]
	v_fmamk_f32 v16, v12, 0xbf5db3d7, v11
	v_fmac_f32_e32 v11, 0x3f5db3d7, v12
	v_fma_f32 v12, -0.5, v15, v61
	v_dual_add_f32 v15, v17, v22 :: v_dual_add_f32 v22, v62, v21
	v_fma_f32 v62, -0.5, v18, v62
	v_add_f32_e32 v61, v63, v65
	s_delay_alu instid0(VALU_DEP_4)
	v_fmamk_f32 v17, v20, 0x3f5db3d7, v12
	v_fmac_f32_e32 v12, 0xbf5db3d7, v20
	v_add_f32_e32 v18, v22, v23
	v_add_f32_e32 v22, v65, v19
	v_fmamk_f32 v20, v60, 0xbf5db3d7, v62
	v_dual_fmac_f32 v62, 0x3f5db3d7, v60 :: v_dual_add_f32 v19, v61, v19
	v_add_f32_e32 v60, v64, v66
	s_delay_alu instid0(VALU_DEP_4) | instskip(SKIP_2) | instid1(VALU_DEP_4)
	v_dual_fmac_f32 v63, -0.5, v22 :: v_dual_sub_f32 v22, v21, v23
	v_sub_f32_e32 v61, v67, v68
	v_add_f32_e32 v23, v105, v64
	v_fma_f32 v105, -0.5, v60, v105
	v_dual_add_f32 v65, v67, v68 :: v_dual_sub_f32 v64, v64, v66
	v_fmamk_f32 v21, v22, 0x3f5db3d7, v63
	v_fmac_f32_e32 v63, 0xbf5db3d7, v22
	v_dual_add_f32 v22, v23, v66 :: v_dual_add_f32 v23, v106, v67
	v_fmamk_f32 v60, v61, 0xbf5db3d7, v105
	v_fmac_f32_e32 v105, 0x3f5db3d7, v61
	v_dual_fmac_f32 v106, -0.5, v65 :: v_dual_add_f32 v67, v9, v10
	v_sub_f32_e32 v65, v9, v10
	v_add_f32_e32 v61, v13, v8
	s_delay_alu instid0(VALU_DEP_1) | instskip(SKIP_3) | instid1(VALU_DEP_4)
	v_fma_f32 v66, -0.5, v61, v103
	v_add_f32_e32 v23, v23, v68
	v_dual_sub_f32 v68, v13, v8 :: v_dual_fmamk_f32 v61, v64, 0x3f5db3d7, v106
	v_fmac_f32_e32 v106, 0xbf5db3d7, v64
	v_fmamk_f32 v64, v65, 0xbf5db3d7, v66
	v_fma_f32 v67, -0.5, v67, v104
	v_fmac_f32_e32 v66, 0x3f5db3d7, v65
	ds_store_2addr_b64 v119, v[14:15], v[16:17] offset1:11
	ds_store_b64 v119, v[11:12] offset:176
	ds_store_2addr_b64 v118, v[18:19], v[20:21] offset1:11
	ds_store_b64 v118, v[62:63] offset:176
	;; [unrolled: 2-line block ×3, first 2 shown]
	v_fmamk_f32 v65, v68, 0x3f5db3d7, v67
	v_fmac_f32_e32 v67, 0xbf5db3d7, v68
	s_and_saveexec_b32 s1, s0
	s_cbranch_execz .LBB0_13
; %bb.12:
	v_mad_u16 v11, v115, 33, v116
	s_delay_alu instid0(VALU_DEP_1) | instskip(SKIP_1) | instid1(VALU_DEP_1)
	v_dual_add_f32 v12, v103, v13 :: v_dual_and_b32 v11, 0xffff, v11
	v_add_f32_e32 v9, v104, v9
	v_dual_add_f32 v8, v12, v8 :: v_dual_add_f32 v9, v9, v10
	s_delay_alu instid0(VALU_DEP_3)
	v_lshlrev_b32_e32 v10, 3, v11
	ds_store_2addr_b64 v10, v[8:9], v[64:65] offset1:11
	ds_store_b64 v10, v[66:67] offset:176
.LBB0_13:
	s_wait_alu 0xfffe
	s_or_b32 exec_lo, exec_lo, s1
	v_add_nc_u32_e32 v12, 0xa00, v114
	v_add_nc_u32_e32 v13, 0x1400, v114
	;; [unrolled: 1-line block ×4, first 2 shown]
	global_wb scope:SCOPE_SE
	s_wait_dscnt 0x0
	s_barrier_signal -1
	s_barrier_wait -1
	global_inv scope:SCOPE_SE
	ds_load_2addr_b64 v[8:11], v114 offset1:165
	ds_load_2addr_b64 v[60:63], v12 offset0:43 offset1:208
	ds_load_2addr_b64 v[20:23], v13 offset0:86 offset1:251
	;; [unrolled: 1-line block ×4, first 2 shown]
	s_and_saveexec_b32 s0, vcc_lo
	s_cbranch_execz .LBB0_15
; %bb.14:
	ds_load_b64 v[64:65], v114 offset:2640
	ds_load_b64 v[66:67], v114 offset:5544
	;; [unrolled: 1-line block ×5, first 2 shown]
.LBB0_15:
	s_wait_alu 0xfffe
	s_or_b32 exec_lo, exec_lo, s0
	s_wait_dscnt 0x3
	v_mul_f32_e32 v68, v37, v61
	v_mul_f32_e32 v37, v37, v60
	s_wait_dscnt 0x2
	v_mul_f32_e32 v69, v39, v21
	v_mul_f32_e32 v39, v39, v20
	global_wb scope:SCOPE_SE
	s_wait_dscnt 0x0
	v_fmac_f32_e32 v68, v36, v60
	v_mul_f32_e32 v60, v35, v13
	v_fma_f32 v36, v36, v61, -v37
	v_mul_f32_e32 v37, v33, v17
	v_mul_f32_e32 v33, v33, v16
	v_fmac_f32_e32 v69, v38, v20
	v_fma_f32 v20, v38, v21, -v39
	v_fmac_f32_e32 v60, v34, v12
	v_dual_fmac_f32 v37, v32, v16 :: v_dual_mul_f32 v16, v29, v62
	v_fma_f32 v21, v32, v17, -v33
	v_mul_f32_e32 v32, v29, v63
	v_mul_f32_e32 v29, v31, v23
	;; [unrolled: 1-line block ×4, first 2 shown]
	s_delay_alu instid0(VALU_DEP_4) | instskip(NEXT) | instid1(VALU_DEP_4)
	v_dual_mul_f32 v33, v25, v19 :: v_dual_fmac_f32 v32, v28, v62
	v_fmac_f32_e32 v29, v30, v22
	s_delay_alu instid0(VALU_DEP_4)
	v_fma_f32 v31, v34, v13, -v12
	v_add_f32_e32 v12, v69, v37
	v_fma_f32 v28, v28, v63, -v16
	v_dual_mul_f32 v13, v25, v18 :: v_dual_sub_f32 v22, v60, v37
	v_add_f32_e32 v16, v8, v68
	v_fma_f32 v30, v30, v23, -v17
	v_fma_f32 v12, -0.5, v12, v8
	v_sub_f32_e32 v17, v36, v31
	v_mul_f32_e32 v23, v27, v15
	v_fma_f32 v25, v24, v19, -v13
	v_add_f32_e32 v13, v16, v69
	s_delay_alu instid0(VALU_DEP_4)
	v_dual_sub_f32 v19, v20, v21 :: v_dual_fmamk_f32 v16, v17, 0xbf737871, v12
	v_fmac_f32_e32 v33, v24, v18
	v_dual_fmac_f32 v23, v26, v14 :: v_dual_add_f32 v24, v68, v60
	v_sub_f32_e32 v18, v68, v69
	v_mul_f32_e32 v14, v27, v14
	v_dual_fmac_f32 v12, 0x3f737871, v17 :: v_dual_sub_f32 v27, v36, v20
	s_delay_alu instid0(VALU_DEP_4) | instskip(NEXT) | instid1(VALU_DEP_4)
	v_fma_f32 v8, -0.5, v24, v8
	v_dual_add_f32 v22, v18, v22 :: v_dual_add_f32 v13, v13, v37
	v_add_f32_e32 v24, v9, v36
	v_fma_f32 v34, v26, v15, -v14
	v_sub_f32_e32 v15, v37, v60
	s_delay_alu instid0(VALU_DEP_4)
	v_dual_sub_f32 v35, v31, v21 :: v_dual_add_f32 v14, v13, v60
	v_fmac_f32_e32 v16, 0xbf167918, v19
	v_dual_fmamk_f32 v18, v19, 0x3f737871, v8 :: v_dual_sub_f32 v13, v69, v68
	v_fmac_f32_e32 v12, 0x3f167918, v19
	v_add_f32_e32 v26, v20, v21
	v_dual_fmac_f32 v8, 0xbf737871, v19 :: v_dual_add_f32 v19, v24, v20
	s_delay_alu instid0(VALU_DEP_4) | instskip(NEXT) | instid1(VALU_DEP_3)
	v_dual_fmac_f32 v16, 0x3e9e377a, v22 :: v_dual_add_f32 v15, v13, v15
	v_fma_f32 v13, -0.5, v26, v9
	s_delay_alu instid0(VALU_DEP_3)
	v_dual_fmac_f32 v12, 0x3e9e377a, v22 :: v_dual_add_f32 v19, v19, v21
	v_dual_sub_f32 v21, v21, v31 :: v_dual_sub_f32 v24, v68, v60
	v_add_f32_e32 v22, v36, v31
	v_fmac_f32_e32 v18, 0xbf167918, v17
	v_sub_f32_e32 v26, v69, v37
	v_fmac_f32_e32 v8, 0x3f167918, v17
	s_barrier_signal -1
	v_fma_f32 v9, -0.5, v22, v9
	v_add_f32_e32 v22, v27, v35
	v_fmac_f32_e32 v18, 0x3e9e377a, v15
	v_dual_fmac_f32 v8, 0x3e9e377a, v15 :: v_dual_add_f32 v27, v29, v33
	v_add_f32_e32 v15, v19, v31
	v_fmamk_f32 v19, v26, 0xbf737871, v9
	v_fmamk_f32 v17, v24, 0x3f737871, v13
	v_fmac_f32_e32 v13, 0xbf737871, v24
	s_barrier_wait -1
	global_inv scope:SCOPE_SE
	v_fmac_f32_e32 v19, 0x3f167918, v24
	v_dual_sub_f32 v20, v20, v36 :: v_dual_fmac_f32 v13, 0xbf167918, v26
	v_fmac_f32_e32 v17, 0x3f167918, v26
	v_dual_fmac_f32 v9, 0x3f737871, v26 :: v_dual_add_f32 v26, v10, v32
	s_delay_alu instid0(VALU_DEP_3)
	v_add_f32_e32 v21, v20, v21
	v_fma_f32 v20, -0.5, v27, v10
	v_sub_f32_e32 v31, v30, v25
	v_sub_f32_e32 v27, v28, v34
	v_fmac_f32_e32 v17, 0x3e9e377a, v22
	v_fmac_f32_e32 v13, 0x3e9e377a, v22
	v_dual_fmac_f32 v9, 0xbf167918, v24 :: v_dual_add_f32 v24, v26, v29
	s_delay_alu instid0(VALU_DEP_4) | instskip(SKIP_2) | instid1(VALU_DEP_4)
	v_fmamk_f32 v22, v27, 0xbf737871, v20
	v_dual_fmac_f32 v19, 0x3e9e377a, v21 :: v_dual_add_f32 v36, v32, v23
	v_sub_f32_e32 v26, v32, v29
	v_add_f32_e32 v24, v24, v33
	s_delay_alu instid0(VALU_DEP_4) | instskip(SKIP_2) | instid1(VALU_DEP_4)
	v_fmac_f32_e32 v22, 0xbf167918, v31
	v_dual_fmac_f32 v20, 0x3f737871, v27 :: v_dual_sub_f32 v35, v23, v33
	v_fma_f32 v10, -0.5, v36, v10
	v_dual_fmac_f32 v9, 0x3e9e377a, v21 :: v_dual_add_f32 v24, v24, v23
	s_delay_alu instid0(VALU_DEP_3) | instskip(NEXT) | instid1(VALU_DEP_4)
	v_dual_add_f32 v21, v30, v25 :: v_dual_fmac_f32 v20, 0x3f167918, v31
	v_dual_add_f32 v26, v26, v35 :: v_dual_sub_f32 v35, v29, v32
	v_dual_sub_f32 v32, v32, v23 :: v_dual_sub_f32 v29, v29, v33
	s_delay_alu instid0(VALU_DEP_3) | instskip(NEXT) | instid1(VALU_DEP_3)
	v_fma_f32 v21, -0.5, v21, v11
	v_fmac_f32_e32 v22, 0x3e9e377a, v26
	v_fmac_f32_e32 v20, 0x3e9e377a, v26
	v_fmamk_f32 v26, v31, 0x3f737871, v10
	v_dual_fmac_f32 v10, 0xbf737871, v31 :: v_dual_add_f32 v31, v11, v28
	v_dual_sub_f32 v36, v33, v23 :: v_dual_fmamk_f32 v23, v32, 0x3f737871, v21
	s_delay_alu instid0(VALU_DEP_3) | instskip(NEXT) | instid1(VALU_DEP_3)
	v_fmac_f32_e32 v26, 0xbf167918, v27
	v_dual_fmac_f32 v10, 0x3f167918, v27 :: v_dual_add_f32 v27, v31, v30
	v_add_f32_e32 v31, v28, v34
	s_delay_alu instid0(VALU_DEP_4) | instskip(NEXT) | instid1(VALU_DEP_3)
	v_add_f32_e32 v35, v35, v36
	v_add_f32_e32 v33, v27, v25
	s_delay_alu instid0(VALU_DEP_3) | instskip(NEXT) | instid1(VALU_DEP_3)
	v_fmac_f32_e32 v11, -0.5, v31
	v_dual_fmac_f32 v26, 0x3e9e377a, v35 :: v_dual_sub_f32 v31, v28, v30
	v_dual_fmac_f32 v10, 0x3e9e377a, v35 :: v_dual_sub_f32 v35, v34, v25
	s_delay_alu instid0(VALU_DEP_3) | instskip(SKIP_4) | instid1(VALU_DEP_4)
	v_dual_sub_f32 v28, v30, v28 :: v_dual_fmamk_f32 v27, v29, 0xbf737871, v11
	v_sub_f32_e32 v25, v25, v34
	v_fmac_f32_e32 v11, 0x3f737871, v29
	v_fmac_f32_e32 v21, 0xbf737871, v32
	v_dual_fmac_f32 v23, 0x3f167918, v29 :: v_dual_add_f32 v30, v31, v35
	v_dual_fmac_f32 v27, 0x3f167918, v32 :: v_dual_add_f32 v28, v28, v25
	s_delay_alu instid0(VALU_DEP_4) | instskip(NEXT) | instid1(VALU_DEP_4)
	v_fmac_f32_e32 v11, 0xbf167918, v32
	v_fmac_f32_e32 v21, 0xbf167918, v29
	v_add_f32_e32 v25, v33, v34
	v_fmac_f32_e32 v23, 0x3e9e377a, v30
	v_fmac_f32_e32 v27, 0x3e9e377a, v28
	;; [unrolled: 1-line block ×4, first 2 shown]
	ds_store_2addr_b64 v122, v[14:15], v[16:17] offset1:33
	ds_store_2addr_b64 v122, v[18:19], v[8:9] offset0:66 offset1:99
	ds_store_b64 v122, v[12:13] offset:1056
	ds_store_2addr_b64 v121, v[24:25], v[22:23] offset1:33
	ds_store_2addr_b64 v121, v[26:27], v[10:11] offset0:66 offset1:99
	ds_store_b64 v121, v[20:21] offset:1056
	s_and_saveexec_b32 s0, vcc_lo
	s_cbranch_execz .LBB0_17
; %bb.16:
	v_dual_mul_f32 v8, v5, v66 :: v_dual_mul_f32 v9, v3, v95
	v_mul_f32_e32 v10, v7, v99
	v_dual_mul_f32 v11, v7, v100 :: v_dual_mul_f32 v12, v1, v98
	s_delay_alu instid0(VALU_DEP_3) | instskip(NEXT) | instid1(VALU_DEP_4)
	v_fma_f32 v8, v4, v67, -v8
	v_fma_f32 v9, v2, v96, -v9
	v_mul_f32_e32 v1, v1, v97
	v_fma_f32 v10, v6, v100, -v10
	v_dual_fmac_f32 v11, v6, v99 :: v_dual_fmac_f32 v12, v0, v97
	s_delay_alu instid0(VALU_DEP_4) | instskip(SKIP_2) | instid1(VALU_DEP_4)
	v_dual_add_f32 v6, v8, v9 :: v_dual_mul_f32 v13, v5, v67
	v_mul_f32_e32 v14, v3, v96
	v_fma_f32 v15, v0, v98, -v1
	v_sub_f32_e32 v0, v11, v12
	s_delay_alu instid0(VALU_DEP_4) | instskip(SKIP_3) | instid1(VALU_DEP_4)
	v_fma_f32 v1, -0.5, v6, v65
	v_fmac_f32_e32 v13, v4, v66
	v_add_f32_e32 v17, v65, v8
	v_add_f32_e32 v5, v10, v15
	v_dual_fmac_f32 v14, v2, v95 :: v_dual_fmamk_f32 v3, v0, 0x3f737871, v1
	v_dual_sub_f32 v4, v15, v9 :: v_dual_fmac_f32 v1, 0xbf737871, v0
	s_delay_alu instid0(VALU_DEP_3) | instskip(NEXT) | instid1(VALU_DEP_3)
	v_fma_f32 v5, -0.5, v5, v65
	v_sub_f32_e32 v6, v13, v14
	s_delay_alu instid0(VALU_DEP_1) | instskip(NEXT) | instid1(VALU_DEP_1)
	v_dual_sub_f32 v16, v9, v15 :: v_dual_fmamk_f32 v7, v6, 0xbf737871, v5
	v_fmac_f32_e32 v7, 0xbf167918, v0
	v_dual_sub_f32 v2, v10, v8 :: v_dual_fmac_f32 v3, 0xbf167918, v6
	v_fmac_f32_e32 v1, 0x3f167918, v6
	s_delay_alu instid0(VALU_DEP_2) | instskip(SKIP_1) | instid1(VALU_DEP_2)
	v_dual_fmac_f32 v5, 0x3f737871, v6 :: v_dual_add_f32 v2, v2, v4
	v_sub_f32_e32 v4, v8, v10
	v_dual_sub_f32 v8, v8, v9 :: v_dual_fmac_f32 v3, 0x3e9e377a, v2
	s_delay_alu instid0(VALU_DEP_2) | instskip(SKIP_3) | instid1(VALU_DEP_3)
	v_add_f32_e32 v4, v4, v16
	v_add_f32_e32 v6, v17, v10
	v_dual_fmac_f32 v1, 0x3e9e377a, v2 :: v_dual_sub_f32 v10, v10, v15
	v_add_f32_e32 v17, v11, v12
	v_dual_fmac_f32 v7, 0x3e9e377a, v4 :: v_dual_add_f32 v6, v6, v15
	v_dual_add_f32 v16, v13, v14 :: v_dual_fmac_f32 v5, 0x3f167918, v0
	v_sub_f32_e32 v15, v11, v13
	s_delay_alu instid0(VALU_DEP_2) | instskip(NEXT) | instid1(VALU_DEP_3)
	v_fma_f32 v0, -0.5, v16, v64
	v_dual_sub_f32 v16, v12, v14 :: v_dual_fmac_f32 v5, 0x3e9e377a, v4
	v_fma_f32 v4, -0.5, v17, v64
	s_delay_alu instid0(VALU_DEP_2) | instskip(SKIP_2) | instid1(VALU_DEP_4)
	v_dual_fmamk_f32 v2, v10, 0xbf737871, v0 :: v_dual_add_f32 v15, v15, v16
	v_add_f32_e32 v16, v64, v13
	v_add_f32_e32 v9, v6, v9
	v_dual_sub_f32 v13, v13, v11 :: v_dual_fmamk_f32 v6, v8, 0x3f737871, v4
	s_delay_alu instid0(VALU_DEP_4) | instskip(SKIP_2) | instid1(VALU_DEP_4)
	v_fmac_f32_e32 v2, 0x3f167918, v8
	v_sub_f32_e32 v17, v14, v12
	v_dual_fmac_f32 v4, 0xbf737871, v8 :: v_dual_add_f32 v11, v16, v11
	v_fmac_f32_e32 v6, 0x3f167918, v10
	s_delay_alu instid0(VALU_DEP_4) | instskip(NEXT) | instid1(VALU_DEP_4)
	v_fmac_f32_e32 v2, 0x3e9e377a, v15
	v_dual_fmac_f32 v0, 0x3f737871, v10 :: v_dual_add_f32 v13, v13, v17
	s_delay_alu instid0(VALU_DEP_4) | instskip(SKIP_1) | instid1(VALU_DEP_3)
	v_dual_fmac_f32 v4, 0xbf167918, v10 :: v_dual_add_f32 v11, v11, v12
	v_lshlrev_b32_e32 v12, 3, v120
	v_fmac_f32_e32 v0, 0xbf167918, v8
	s_delay_alu instid0(VALU_DEP_4) | instskip(NEXT) | instid1(VALU_DEP_4)
	v_fmac_f32_e32 v6, 0x3e9e377a, v13
	v_fmac_f32_e32 v4, 0x3e9e377a, v13
	v_add_f32_e32 v8, v11, v14
	v_add_nc_u32_e32 v10, 0x3000, v12
	v_fmac_f32_e32 v0, 0x3e9e377a, v15
	ds_store_2addr_b64 v10, v[8:9], v[4:5] offset0:114 offset1:147
	ds_store_2addr_b64 v10, v[0:1], v[2:3] offset0:180 offset1:213
	ds_store_b64 v12, v[6:7] offset:14256
.LBB0_17:
	s_wait_alu 0xfffe
	s_or_b32 exec_lo, exec_lo, s0
	global_wb scope:SCOPE_SE
	s_wait_dscnt 0x0
	s_barrier_signal -1
	s_barrier_wait -1
	global_inv scope:SCOPE_SE
	ds_load_2addr_b64 v[4:7], v114 offset1:165
	v_add_nc_u32_e32 v3, 0x800, v114
	v_add_nc_u32_e32 v2, 0x1400, v114
	s_mov_b32 s0, 0x953a4099
	s_mov_b32 s1, 0x3f420dd2
	s_wait_dscnt 0x0
	v_mul_f32_e32 v26, v57, v7
	ds_load_2addr_b64 v[8:11], v3 offset0:74 offset1:239
	ds_load_2addr_b64 v[12:15], v2 offset0:20 offset1:185
	v_add_nc_u32_e32 v1, 0x1e00, v114
	v_mul_f32_e32 v27, v57, v6
	v_add_nc_u32_e32 v0, 0x2800, v114
	v_fmac_f32_e32 v26, v56, v6
	s_wait_dscnt 0x0
	v_dual_mul_f32 v28, v53, v11 :: v_dual_mul_f32 v31, v55, v12
	v_mul_f32_e32 v30, v55, v13
	v_fma_f32 v6, v56, v7, -v27
	v_mul_f32_e32 v7, v59, v8
	ds_load_2addr_b64 v[16:19], v1 offset0:30 offset1:195
	ds_load_b64 v[24:25], v114 offset:13200
	ds_load_2addr_b64 v[20:23], v0 offset0:40 offset1:205
	v_mul_f32_e32 v27, v59, v9
	v_dual_mul_f32 v29, v53, v10 :: v_dual_fmac_f32 v30, v54, v12
	v_mul_f32_e32 v32, v45, v15
	s_delay_alu instid0(VALU_DEP_3) | instskip(SKIP_1) | instid1(VALU_DEP_4)
	v_dual_fmac_f32 v28, v52, v10 :: v_dual_fmac_f32 v27, v58, v8
	v_fma_f32 v8, v58, v9, -v7
	v_fma_f32 v9, v52, v11, -v29
	;; [unrolled: 1-line block ×3, first 2 shown]
	s_wait_dscnt 0x2
	v_dual_fmac_f32 v32, v44, v14 :: v_dual_mul_f32 v11, v47, v17
	s_delay_alu instid0(VALU_DEP_1) | instskip(NEXT) | instid1(VALU_DEP_1)
	v_dual_add_f32 v12, v4, v26 :: v_dual_fmac_f32 v11, v46, v16
	v_dual_mul_f32 v7, v45, v14 :: v_dual_add_f32 v12, v12, v27
	v_add_f32_e32 v13, v5, v6
	s_delay_alu instid0(VALU_DEP_2) | instskip(NEXT) | instid1(VALU_DEP_3)
	v_fma_f32 v14, v44, v15, -v7
	v_add_f32_e32 v12, v12, v28
	v_mul_f32_e32 v7, v47, v16
	s_delay_alu instid0(VALU_DEP_4) | instskip(SKIP_1) | instid1(VALU_DEP_3)
	v_add_f32_e32 v13, v13, v8
	v_mul_f32_e32 v15, v41, v19
	v_fma_f32 v16, v46, v17, -v7
	v_mul_f32_e32 v7, v41, v18
	s_delay_alu instid0(VALU_DEP_3) | instskip(NEXT) | instid1(VALU_DEP_2)
	v_fmac_f32_e32 v15, v40, v18
	v_fma_f32 v18, v40, v19, -v7
	v_add_f32_e32 v13, v13, v9
	s_wait_dscnt 0x0
	v_mul_f32_e32 v17, v43, v21
	v_add_f32_e32 v7, v12, v30
	v_mul_f32_e32 v19, v49, v23
	v_dual_add_f32 v12, v13, v10 :: v_dual_mul_f32 v13, v43, v20
	s_delay_alu instid0(VALU_DEP_2) | instskip(SKIP_1) | instid1(VALU_DEP_3)
	v_fmac_f32_e32 v19, v48, v22
	v_mul_f32_e32 v22, v49, v22
	v_add_f32_e32 v12, v12, v14
	s_delay_alu instid0(VALU_DEP_4) | instskip(SKIP_1) | instid1(VALU_DEP_4)
	v_fma_f32 v13, v42, v21, -v13
	v_mul_f32_e32 v21, v51, v25
	v_fma_f32 v22, v48, v23, -v22
	s_delay_alu instid0(VALU_DEP_4) | instskip(NEXT) | instid1(VALU_DEP_3)
	v_add_f32_e32 v12, v12, v16
	v_fmac_f32_e32 v21, v50, v24
	s_delay_alu instid0(VALU_DEP_3) | instskip(NEXT) | instid1(VALU_DEP_3)
	v_dual_add_f32 v7, v7, v32 :: v_dual_sub_f32 v46, v8, v22
	v_dual_add_f32 v12, v12, v18 :: v_dual_fmac_f32 v17, v42, v20
	v_mul_f32_e32 v20, v51, v24
	s_delay_alu instid0(VALU_DEP_3) | instskip(NEXT) | instid1(VALU_DEP_3)
	v_dual_add_f32 v7, v7, v11 :: v_dual_add_f32 v8, v8, v22
	v_add_f32_e32 v12, v12, v13
	s_delay_alu instid0(VALU_DEP_3) | instskip(NEXT) | instid1(VALU_DEP_1)
	v_fma_f32 v20, v50, v25, -v20
	v_dual_sub_f32 v24, v6, v20 :: v_dual_add_f32 v7, v7, v15
	v_add_f32_e32 v29, v6, v20
	s_delay_alu instid0(VALU_DEP_2) | instskip(NEXT) | instid1(VALU_DEP_2)
	v_dual_mul_f32 v36, 0xbf7d64f0, v24 :: v_dual_add_f32 v7, v7, v17
	v_mul_f32_e32 v38, 0xbe11bafb, v29
	s_delay_alu instid0(VALU_DEP_2) | instskip(SKIP_2) | instid1(VALU_DEP_3)
	v_dual_add_f32 v6, v7, v19 :: v_dual_add_f32 v7, v12, v22
	v_sub_f32_e32 v12, v26, v21
	v_dual_add_f32 v23, v26, v21 :: v_dual_mul_f32 v22, 0xbf68dda4, v46
	v_dual_add_f32 v6, v6, v21 :: v_dual_add_f32 v7, v7, v20
	s_delay_alu instid0(VALU_DEP_3) | instskip(NEXT) | instid1(VALU_DEP_3)
	v_fmamk_f32 v40, v12, 0x3f7d64f0, v38
	v_fmamk_f32 v37, v23, 0xbe11bafb, v36
	v_fmac_f32_e32 v38, 0xbf7d64f0, v12
	v_mul_f32_e32 v25, 0xbf0a6770, v24
	v_fma_f32 v36, 0xbe11bafb, v23, -v36
	s_delay_alu instid0(VALU_DEP_4) | instskip(NEXT) | instid1(VALU_DEP_4)
	v_dual_add_f32 v40, v5, v40 :: v_dual_add_f32 v37, v4, v37
	v_add_f32_e32 v38, v5, v38
	s_delay_alu instid0(VALU_DEP_4) | instskip(SKIP_2) | instid1(VALU_DEP_3)
	v_fmamk_f32 v26, v23, 0x3f575c64, v25
	v_fma_f32 v25, 0x3f575c64, v23, -v25
	v_add_f32_e32 v36, v4, v36
	v_add_f32_e32 v20, v4, v26
	v_dual_mul_f32 v26, 0xbf68dda4, v24 :: v_dual_add_f32 v47, v27, v19
	s_delay_alu instid0(VALU_DEP_1)
	v_fmamk_f32 v34, v23, 0x3ed4b147, v26
	v_mul_f32_e32 v31, 0x3f575c64, v29
	v_mul_f32_e32 v33, 0x3ed4b147, v29
	v_mul_f32_e32 v42, 0xbf27a4f4, v29
	v_add_f32_e32 v25, v4, v25
	v_add_f32_e32 v34, v4, v34
	v_fma_f32 v26, 0x3ed4b147, v23, -v26
	v_fmamk_f32 v35, v12, 0x3f68dda4, v33
	v_fmac_f32_e32 v33, 0xbf68dda4, v12
	v_fmamk_f32 v43, v12, 0x3f4178ce, v42
	v_fmac_f32_e32 v42, 0xbf4178ce, v12
	;; [unrolled: 2-line block ×3, first 2 shown]
	v_add_f32_e32 v33, v5, v33
	v_mul_f32_e32 v39, 0xbf4178ce, v24
	v_mul_f32_e32 v24, 0xbe903f40, v24
	v_add_f32_e32 v42, v5, v42
	v_add_f32_e32 v21, v5, v21
	v_add_f32_e32 v31, v5, v31
	v_fmamk_f32 v41, v23, 0xbf27a4f4, v39
	v_mul_f32_e32 v29, 0xbf75a155, v29
	v_fma_f32 v39, 0xbf27a4f4, v23, -v39
	v_dual_add_f32 v43, v5, v43 :: v_dual_fmamk_f32 v44, v23, 0xbf75a155, v24
	v_fma_f32 v23, 0xbf75a155, v23, -v24
	v_fmamk_f32 v24, v47, 0x3ed4b147, v22
	v_fma_f32 v22, 0x3ed4b147, v47, -v22
	v_fmamk_f32 v45, v12, 0x3e903f40, v29
	v_add_f32_e32 v26, v4, v26
	v_add_f32_e32 v44, v4, v44
	;; [unrolled: 1-line block ×3, first 2 shown]
	v_dual_add_f32 v22, v22, v25 :: v_dual_mul_f32 v25, 0x3e903f40, v46
	v_add_f32_e32 v39, v4, v39
	v_dual_fmac_f32 v29, 0xbe903f40, v12 :: v_dual_sub_f32 v12, v27, v19
	v_mul_f32_e32 v19, 0x3ed4b147, v8
	v_add_f32_e32 v35, v5, v35
	v_add_f32_e32 v41, v4, v41
	v_dual_add_f32 v45, v5, v45 :: v_dual_add_f32 v4, v4, v23
	v_mul_f32_e32 v23, 0xbf4178ce, v46
	v_fmamk_f32 v27, v12, 0x3f68dda4, v19
	s_delay_alu instid0(VALU_DEP_2) | instskip(NEXT) | instid1(VALU_DEP_2)
	v_dual_add_f32 v5, v5, v29 :: v_dual_fmamk_f32 v24, v47, 0xbf27a4f4, v23
	v_add_f32_e32 v21, v27, v21
	v_mul_f32_e32 v27, 0xbf27a4f4, v8
	s_delay_alu instid0(VALU_DEP_3) | instskip(SKIP_1) | instid1(VALU_DEP_3)
	v_dual_fmac_f32 v19, 0xbf68dda4, v12 :: v_dual_add_f32 v24, v24, v34
	v_fmamk_f32 v34, v47, 0xbf75a155, v25
	v_fmamk_f32 v29, v12, 0x3f4178ce, v27
	v_fma_f32 v25, 0xbf75a155, v47, -v25
	s_delay_alu instid0(VALU_DEP_4) | instskip(SKIP_1) | instid1(VALU_DEP_3)
	v_add_f32_e32 v19, v19, v31
	v_mul_f32_e32 v31, 0xbf75a155, v8
	v_dual_add_f32 v25, v25, v36 :: v_dual_mul_f32 v36, 0x3f0a6770, v46
	v_fma_f32 v23, 0xbf27a4f4, v47, -v23
	v_add_f32_e32 v29, v29, v35
	v_fmac_f32_e32 v27, 0xbf4178ce, v12
	v_mul_f32_e32 v35, 0xbe11bafb, v8
	s_delay_alu instid0(VALU_DEP_4) | instskip(NEXT) | instid1(VALU_DEP_3)
	v_dual_mul_f32 v8, 0x3f575c64, v8 :: v_dual_add_f32 v23, v23, v26
	v_add_f32_e32 v26, v27, v33
	v_dual_add_f32 v33, v34, v37 :: v_dual_mul_f32 v34, 0x3f7d64f0, v46
	v_fmamk_f32 v27, v12, 0xbe903f40, v31
	s_delay_alu instid0(VALU_DEP_2) | instskip(SKIP_1) | instid1(VALU_DEP_1)
	v_fmamk_f32 v37, v47, 0xbe11bafb, v34
	v_fma_f32 v34, 0xbe11bafb, v47, -v34
	v_dual_add_f32 v37, v37, v41 :: v_dual_add_f32 v34, v34, v39
	v_fmac_f32_e32 v31, 0x3e903f40, v12
	v_fmamk_f32 v41, v12, 0xbf0a6770, v8
	s_delay_alu instid0(VALU_DEP_2)
	v_dual_fmac_f32 v8, 0x3f0a6770, v12 :: v_dual_add_f32 v31, v31, v38
	v_fmamk_f32 v38, v12, 0xbf7d64f0, v35
	v_dual_fmac_f32 v35, 0x3f7d64f0, v12 :: v_dual_sub_f32 v12, v28, v17
	v_add_f32_e32 v27, v27, v40
	v_fmamk_f32 v40, v47, 0x3f575c64, v36
	v_fma_f32 v36, 0x3f575c64, v47, -v36
	v_dual_add_f32 v5, v8, v5 :: v_dual_add_f32 v38, v38, v43
	s_delay_alu instid0(VALU_DEP_3) | instskip(SKIP_3) | instid1(VALU_DEP_4)
	v_dual_add_f32 v39, v40, v44 :: v_dual_sub_f32 v40, v9, v13
	v_add_f32_e32 v9, v9, v13
	v_add_f32_e32 v13, v28, v17
	v_dual_add_f32 v4, v36, v4 :: v_dual_add_f32 v35, v35, v42
	v_mul_f32_e32 v36, 0x3e903f40, v40
	s_delay_alu instid0(VALU_DEP_4) | instskip(SKIP_2) | instid1(VALU_DEP_3)
	v_mul_f32_e32 v17, 0xbe11bafb, v9
	v_mul_f32_e32 v42, 0xbf7d64f0, v40
	v_add_f32_e32 v28, v41, v45
	v_fmamk_f32 v8, v12, 0x3f7d64f0, v17
	s_delay_alu instid0(VALU_DEP_1) | instskip(SKIP_2) | instid1(VALU_DEP_3)
	v_dual_fmamk_f32 v41, v13, 0xbe11bafb, v42 :: v_dual_add_f32 v8, v8, v21
	v_fmamk_f32 v21, v13, 0xbf75a155, v36
	v_fma_f32 v36, 0xbf75a155, v13, -v36
	v_add_f32_e32 v20, v41, v20
	v_fma_f32 v41, 0xbe11bafb, v13, -v42
	s_delay_alu instid0(VALU_DEP_4) | instskip(NEXT) | instid1(VALU_DEP_4)
	v_add_f32_e32 v21, v21, v24
	v_add_f32_e32 v23, v36, v23
	v_fmac_f32_e32 v17, 0xbf7d64f0, v12
	v_mul_f32_e32 v36, 0xbf0a6770, v40
	v_add_f32_e32 v22, v41, v22
	s_delay_alu instid0(VALU_DEP_3) | instskip(SKIP_4) | instid1(VALU_DEP_4)
	v_add_f32_e32 v17, v17, v19
	v_mul_f32_e32 v19, 0x3f68dda4, v40
	v_mul_f32_e32 v40, 0xbf4178ce, v40
	;; [unrolled: 1-line block ×4, first 2 shown]
	v_fmamk_f32 v41, v13, 0x3ed4b147, v19
	s_delay_alu instid0(VALU_DEP_3) | instskip(SKIP_1) | instid1(VALU_DEP_2)
	v_fmamk_f32 v24, v12, 0xbe903f40, v42
	v_fmac_f32_e32 v42, 0x3e903f40, v12
	v_add_f32_e32 v24, v24, v29
	s_delay_alu instid0(VALU_DEP_4) | instskip(SKIP_1) | instid1(VALU_DEP_4)
	v_add_f32_e32 v29, v41, v33
	v_fmamk_f32 v33, v12, 0xbf68dda4, v43
	v_dual_fmac_f32 v43, 0x3f68dda4, v12 :: v_dual_add_f32 v26, v42, v26
	s_delay_alu instid0(VALU_DEP_2) | instskip(SKIP_2) | instid1(VALU_DEP_1)
	v_add_f32_e32 v27, v33, v27
	v_fmamk_f32 v33, v13, 0x3f575c64, v36
	v_fma_f32 v36, 0x3f575c64, v13, -v36
	v_dual_add_f32 v33, v33, v37 :: v_dual_add_f32 v34, v36, v34
	v_sub_f32_e32 v36, v10, v18
	v_dual_add_f32 v10, v10, v18 :: v_dual_mul_f32 v41, 0x3f575c64, v9
	v_mul_f32_e32 v9, 0xbf27a4f4, v9
	s_delay_alu instid0(VALU_DEP_3) | instskip(SKIP_3) | instid1(VALU_DEP_3)
	v_mul_f32_e32 v18, 0xbf4178ce, v36
	v_fma_f32 v19, 0x3ed4b147, v13, -v19
	v_fmamk_f32 v37, v13, 0xbf27a4f4, v40
	v_fma_f32 v13, 0xbf27a4f4, v13, -v40
	v_add_f32_e32 v19, v19, v25
	v_add_f32_e32 v25, v43, v31
	v_fmamk_f32 v31, v12, 0x3f0a6770, v41
	v_fmac_f32_e32 v41, 0xbf0a6770, v12
	v_add_f32_e32 v37, v37, v39
	v_dual_add_f32 v39, v30, v15 :: v_dual_add_f32 v4, v13, v4
	s_delay_alu instid0(VALU_DEP_4) | instskip(SKIP_1) | instid1(VALU_DEP_3)
	v_dual_add_f32 v31, v31, v38 :: v_dual_fmamk_f32 v38, v12, 0x3f4178ce, v9
	v_dual_fmac_f32 v9, 0xbf4178ce, v12 :: v_dual_sub_f32 v12, v30, v15
	v_dual_mul_f32 v15, 0xbf27a4f4, v10 :: v_dual_fmamk_f32 v30, v39, 0xbf27a4f4, v18
	v_fma_f32 v18, 0xbf27a4f4, v39, -v18
	s_delay_alu instid0(VALU_DEP_3) | instskip(NEXT) | instid1(VALU_DEP_3)
	v_dual_add_f32 v5, v9, v5 :: v_dual_add_f32 v28, v38, v28
	v_fmamk_f32 v9, v12, 0x3f4178ce, v15
	s_delay_alu instid0(VALU_DEP_3) | instskip(SKIP_2) | instid1(VALU_DEP_4)
	v_dual_fmac_f32 v15, 0xbf4178ce, v12 :: v_dual_add_f32 v18, v18, v22
	v_add_f32_e32 v13, v30, v20
	v_mul_f32_e32 v20, 0x3f7d64f0, v36
	v_dual_add_f32 v8, v9, v8 :: v_dual_mul_f32 v9, 0xbe11bafb, v10
	s_delay_alu instid0(VALU_DEP_4) | instskip(SKIP_1) | instid1(VALU_DEP_4)
	v_add_f32_e32 v15, v15, v17
	v_mul_f32_e32 v17, 0xbf0a6770, v36
	v_fmamk_f32 v30, v39, 0xbe11bafb, v20
	v_fma_f32 v20, 0xbe11bafb, v39, -v20
	v_fmamk_f32 v22, v12, 0xbf7d64f0, v9
	v_fmac_f32_e32 v9, 0x3f7d64f0, v12
	s_delay_alu instid0(VALU_DEP_4) | instskip(NEXT) | instid1(VALU_DEP_3)
	v_dual_add_f32 v21, v30, v21 :: v_dual_fmamk_f32 v30, v39, 0x3f575c64, v17
	v_add_f32_e32 v22, v22, v24
	v_mul_f32_e32 v24, 0x3f575c64, v10
	s_delay_alu instid0(VALU_DEP_4) | instskip(NEXT) | instid1(VALU_DEP_4)
	v_dual_add_f32 v20, v20, v23 :: v_dual_add_f32 v23, v9, v26
	v_dual_add_f32 v26, v30, v29 :: v_dual_mul_f32 v9, 0xbe903f40, v36
	s_delay_alu instid0(VALU_DEP_3) | instskip(SKIP_3) | instid1(VALU_DEP_4)
	v_fmamk_f32 v29, v12, 0x3f0a6770, v24
	v_fma_f32 v17, 0x3f575c64, v39, -v17
	v_fmac_f32_e32 v24, 0xbf0a6770, v12
	v_mul_f32_e32 v30, 0xbf75a155, v10
	v_dual_fmamk_f32 v38, v39, 0xbf75a155, v9 :: v_dual_add_f32 v27, v29, v27
	s_delay_alu instid0(VALU_DEP_4) | instskip(NEXT) | instid1(VALU_DEP_3)
	v_dual_add_f32 v17, v17, v19 :: v_dual_mul_f32 v10, 0x3ed4b147, v10
	v_fmamk_f32 v19, v12, 0x3e903f40, v30
	v_dual_fmac_f32 v30, 0xbe903f40, v12 :: v_dual_add_f32 v29, v24, v25
	v_mul_f32_e32 v25, 0x3f68dda4, v36
	v_dual_sub_f32 v36, v14, v16 :: v_dual_add_f32 v35, v41, v35
	v_dual_add_f32 v24, v38, v33 :: v_dual_fmamk_f32 v33, v12, 0xbf68dda4, v10
	v_dual_fmac_f32 v10, 0x3f68dda4, v12 :: v_dual_add_f32 v19, v19, v31
	s_delay_alu instid0(VALU_DEP_3) | instskip(SKIP_4) | instid1(VALU_DEP_3)
	v_add_f32_e32 v30, v30, v35
	v_add_f32_e32 v35, v14, v16
	v_fma_f32 v14, 0x3ed4b147, v39, -v25
	v_dual_fmamk_f32 v31, v39, 0x3ed4b147, v25 :: v_dual_add_f32 v28, v33, v28
	v_add_f32_e32 v33, v32, v11
	v_dual_sub_f32 v25, v32, v11 :: v_dual_add_f32 v32, v14, v4
	s_delay_alu instid0(VALU_DEP_3) | instskip(SKIP_2) | instid1(VALU_DEP_3)
	v_dual_mul_f32 v14, 0x3f0a6770, v36 :: v_dual_add_f32 v31, v31, v37
	v_dual_mul_f32 v12, 0xbf75a155, v35 :: v_dual_add_f32 v37, v10, v5
	v_mul_f32_e32 v38, 0xbf27a4f4, v35
	v_fmamk_f32 v10, v33, 0x3f575c64, v14
	v_fma_f32 v9, 0xbf75a155, v39, -v9
	s_delay_alu instid0(VALU_DEP_4)
	v_fmamk_f32 v5, v25, 0x3e903f40, v12
	v_fmac_f32_e32 v12, 0xbe903f40, v25
	v_fmamk_f32 v16, v25, 0x3f4178ce, v38
	v_fmac_f32_e32 v38, 0xbf4178ce, v25
	v_dual_add_f32 v34, v9, v34 :: v_dual_mul_f32 v9, 0xbe903f40, v36
	v_add_f32_e32 v5, v5, v8
	s_delay_alu instid0(VALU_DEP_2) | instskip(SKIP_1) | instid1(VALU_DEP_1)
	v_fmamk_f32 v11, v33, 0xbf75a155, v9
	v_fma_f32 v9, 0xbf75a155, v33, -v9
	v_add_f32_e32 v8, v9, v18
	s_delay_alu instid0(VALU_DEP_3)
	v_dual_add_f32 v4, v11, v13 :: v_dual_mul_f32 v13, 0x3f575c64, v35
	v_add_f32_e32 v9, v12, v15
	v_fma_f32 v12, 0x3f575c64, v33, -v14
	v_mul_f32_e32 v14, 0xbf4178ce, v36
	v_mul_f32_e32 v18, 0x3f68dda4, v36
	v_fmamk_f32 v11, v25, 0xbf0a6770, v13
	s_delay_alu instid0(VALU_DEP_4) | instskip(NEXT) | instid1(VALU_DEP_4)
	v_dual_fmac_f32 v13, 0x3f0a6770, v25 :: v_dual_add_f32 v12, v12, v20
	v_fmamk_f32 v15, v33, 0xbf27a4f4, v14
	v_fma_f32 v20, 0xbf27a4f4, v33, -v14
	s_delay_alu instid0(VALU_DEP_4) | instskip(SKIP_1) | instid1(VALU_DEP_4)
	v_dual_add_f32 v11, v11, v22 :: v_dual_fmamk_f32 v22, v33, 0x3ed4b147, v18
	v_add_f32_e32 v10, v10, v21
	v_add_f32_e32 v14, v15, v26
	v_mul_f32_e32 v26, 0xbe11bafb, v35
	v_add_f32_e32 v13, v13, v23
	v_mul_f32_e32 v21, 0x3ed4b147, v35
	v_add_f32_e32 v15, v16, v27
	s_delay_alu instid0(VALU_DEP_4)
	v_fmamk_f32 v23, v25, 0x3f7d64f0, v26
	v_fmac_f32_e32 v26, 0xbf7d64f0, v25
	v_add_f32_e32 v16, v20, v17
	v_fma_f32 v20, 0x3ed4b147, v33, -v18
	v_add_f32_e32 v18, v22, v24
	v_mul_f32_e32 v22, 0xbf7d64f0, v36
	v_fmamk_f32 v17, v25, 0xbf68dda4, v21
	v_fmac_f32_e32 v21, 0x3f68dda4, v25
	v_dual_add_f32 v23, v23, v28 :: v_dual_add_f32 v20, v20, v34
	s_delay_alu instid0(VALU_DEP_4) | instskip(SKIP_1) | instid1(VALU_DEP_2)
	v_fma_f32 v24, 0xbe11bafb, v33, -v22
	v_add_f32_e32 v25, v26, v37
	v_dual_add_f32 v21, v21, v30 :: v_dual_add_f32 v24, v24, v32
	v_add_f32_e32 v19, v17, v19
	v_fmamk_f32 v17, v33, 0xbe11bafb, v22
	s_delay_alu instid0(VALU_DEP_1)
	v_dual_add_f32 v22, v17, v31 :: v_dual_add_f32 v17, v38, v29
	ds_store_2addr_b64 v114, v[6:7], v[4:5] offset1:165
	ds_store_2addr_b64 v3, v[10:11], v[14:15] offset0:74 offset1:239
	ds_store_2addr_b64 v2, v[18:19], v[22:23] offset0:20 offset1:185
	;; [unrolled: 1-line block ×4, first 2 shown]
	ds_store_b64 v114, v[8:9] offset:13200
	global_wb scope:SCOPE_SE
	s_wait_dscnt 0x0
	s_barrier_signal -1
	s_barrier_wait -1
	global_inv scope:SCOPE_SE
	ds_load_2addr_b64 v[4:7], v114 offset1:165
	v_mad_co_u64_u32 v[16:17], null, s6, v72, 0
	v_mad_co_u64_u32 v[22:23], null, s4, v113, 0
	s_wait_dscnt 0x0
	v_mul_f32_e32 v8, v94, v5
	v_mul_f32_e32 v9, v94, v4
	s_delay_alu instid0(VALU_DEP_2) | instskip(NEXT) | instid1(VALU_DEP_2)
	v_fmac_f32_e32 v8, v93, v4
	v_fma_f32 v9, v93, v5, -v9
	s_delay_alu instid0(VALU_DEP_2) | instskip(NEXT) | instid1(VALU_DEP_2)
	v_cvt_f64_f32_e32 v[4:5], v8
	v_cvt_f64_f32_e32 v[12:13], v9
	ds_load_2addr_b64 v[8:11], v3 offset0:74 offset1:239
	s_wait_dscnt 0x0
	v_mul_f32_e32 v14, v92, v9
	s_delay_alu instid0(VALU_DEP_1) | instskip(NEXT) | instid1(VALU_DEP_1)
	v_dual_mul_f32 v15, v76, v11 :: v_dual_fmac_f32 v14, v91, v8
	v_fmac_f32_e32 v15, v75, v10
	s_delay_alu instid0(VALU_DEP_2) | instskip(NEXT) | instid1(VALU_DEP_2)
	v_cvt_f64_f32_e32 v[28:29], v14
	v_cvt_f64_f32_e32 v[32:33], v15
	s_wait_alu 0xfffe
	v_mul_f64_e32 v[18:19], s[0:1], v[4:5]
	ds_load_2addr_b64 v[2:5], v2 offset0:20 offset1:185
	v_mul_f64_e32 v[20:21], s[0:1], v[12:13]
	v_mul_f32_e32 v12, v90, v7
	v_mul_f32_e32 v13, v90, v6
	s_delay_alu instid0(VALU_DEP_2) | instskip(SKIP_1) | instid1(VALU_DEP_3)
	v_fmac_f32_e32 v12, v89, v6
	v_mul_f32_e32 v6, v92, v8
	v_fma_f32 v7, v89, v7, -v13
	s_delay_alu instid0(VALU_DEP_3) | instskip(NEXT) | instid1(VALU_DEP_3)
	v_cvt_f64_f32_e32 v[24:25], v12
	v_fma_f32 v12, v91, v9, -v6
	s_delay_alu instid0(VALU_DEP_3)
	v_cvt_f64_f32_e32 v[26:27], v7
	ds_load_2addr_b64 v[6:9], v1 offset0:30 offset1:195
	v_mul_f32_e32 v1, v76, v10
	v_cvt_f64_f32_e32 v[30:31], v12
	ds_load_2addr_b64 v[12:15], v0 offset0:40 offset1:205
	s_wait_dscnt 0x2
	v_mul_f32_e32 v10, v82, v3
	v_mul_f32_e32 v0, v82, v2
	;; [unrolled: 1-line block ×3, first 2 shown]
	v_fma_f32 v1, v75, v11, -v1
	s_delay_alu instid0(VALU_DEP_4) | instskip(NEXT) | instid1(VALU_DEP_4)
	v_dual_mul_f32 v11, v84, v4 :: v_dual_fmac_f32 v10, v81, v2
	v_fma_f32 v35, v81, v3, -v0
	s_delay_alu instid0(VALU_DEP_4) | instskip(NEXT) | instid1(VALU_DEP_4)
	v_fmac_f32_e32 v34, v83, v4
	v_cvt_f64_f32_e32 v[0:1], v1
	s_delay_alu instid0(VALU_DEP_4)
	v_fma_f32 v36, v83, v5, -v11
	v_cvt_f64_f32_e32 v[2:3], v10
	v_cvt_f64_f32_e32 v[4:5], v35
	;; [unrolled: 1-line block ×3, first 2 shown]
	ds_load_b64 v[34:35], v114 offset:13200
	v_cvt_f64_f32_e32 v[36:37], v36
	s_wait_dscnt 0x2
	v_mul_f32_e32 v38, v74, v7
	v_mul_f32_e32 v39, v74, v6
	;; [unrolled: 1-line block ×4, first 2 shown]
	s_wait_dscnt 0x1
	v_mul_f32_e32 v44, v86, v15
	v_dual_mul_f32 v42, v80, v13 :: v_dual_mul_f32 v45, v86, v14
	v_fmac_f32_e32 v38, v73, v6
	v_fma_f32 v39, v73, v7, -v39
	v_fmac_f32_e32 v40, v77, v8
	s_delay_alu instid0(VALU_DEP_4)
	v_fmac_f32_e32 v42, v79, v12
	v_mul_f32_e32 v12, v80, v12
	v_fma_f32 v41, v77, v9, -v41
	v_fmac_f32_e32 v44, v85, v14
	v_fma_f32 v45, v85, v15, -v45
	v_cvt_f64_f32_e32 v[6:7], v38
	v_fma_f32 v12, v79, v13, -v12
	v_cvt_f64_f32_e32 v[8:9], v39
	s_wait_dscnt 0x0
	v_mul_f32_e32 v46, v88, v35
	v_mul_f32_e32 v47, v88, v34
	v_cvt_f64_f32_e32 v[38:39], v40
	v_cvt_f64_f32_e32 v[40:41], v41
	;; [unrolled: 1-line block ×3, first 2 shown]
	v_fmac_f32_e32 v46, v87, v34
	v_fma_f32 v47, v87, v35, -v47
	v_cvt_f64_f32_e32 v[12:13], v12
	v_cvt_f64_f32_e32 v[14:15], v44
	;; [unrolled: 1-line block ×5, first 2 shown]
	v_mad_co_u64_u32 v[48:49], null, s7, v72, v[17:18]
	v_mov_b32_e32 v17, v23
	v_mul_f64_e32 v[24:25], s[0:1], v[24:25]
	v_mul_f64_e32 v[26:27], s[0:1], v[26:27]
	;; [unrolled: 1-line block ×4, first 2 shown]
	v_mad_co_u64_u32 v[49:50], null, s5, v113, v[17:18]
	v_mov_b32_e32 v17, v48
	v_cvt_f32_f64_e32 v18, v[18:19]
	v_cvt_f32_f64_e32 v19, v[20:21]
	v_mul_f64_e32 v[20:21], s[0:1], v[32:33]
	v_mul_f64_e32 v[0:1], s[0:1], v[0:1]
	v_lshlrev_b64_e32 v[16:17], 3, v[16:17]
	v_mov_b32_e32 v23, v49
	v_mul_f64_e32 v[2:3], s[0:1], v[2:3]
	v_mul_f64_e32 v[4:5], s[0:1], v[4:5]
	;; [unrolled: 1-line block ×3, first 2 shown]
	v_add_co_u32 v48, vcc_lo, s2, v16
	s_wait_alu 0xfffd
	v_add_co_ci_u32_e32 v49, vcc_lo, s3, v17, vcc_lo
	v_lshlrev_b64_e32 v[16:17], 3, v[22:23]
	v_mul_f64_e32 v[22:23], s[0:1], v[36:37]
	v_mul_f64_e32 v[6:7], s[0:1], v[6:7]
	;; [unrolled: 1-line block ×6, first 2 shown]
	v_add_co_u32 v16, vcc_lo, v48, v16
	v_mul_f64_e32 v[12:13], s[0:1], v[12:13]
	v_mul_f64_e32 v[14:15], s[0:1], v[14:15]
	v_mul_f64_e32 v[34:35], s[0:1], v[34:35]
	v_mul_f64_e32 v[40:41], s[0:1], v[44:45]
	v_mul_f64_e32 v[42:43], s[0:1], v[46:47]
	s_wait_alu 0xfffd
	v_add_co_ci_u32_e32 v17, vcc_lo, v49, v17, vcc_lo
	s_mul_u64 s[0:1], s[4:5], 0x528
	v_cvt_f32_f64_e32 v24, v[24:25]
	v_cvt_f32_f64_e32 v25, v[26:27]
	;; [unrolled: 1-line block ×4, first 2 shown]
	s_wait_alu 0xfffe
	v_add_co_u32 v26, vcc_lo, v16, s0
	s_wait_alu 0xfffd
	v_add_co_ci_u32_e32 v27, vcc_lo, s1, v17, vcc_lo
	global_store_b64 v[16:17], v[18:19], off
	v_cvt_f32_f64_e32 v20, v[20:21]
	v_cvt_f32_f64_e32 v21, v[0:1]
	v_add_co_u32 v30, vcc_lo, v26, s0
	v_cvt_f32_f64_e32 v0, v[2:3]
	v_cvt_f32_f64_e32 v1, v[4:5]
	s_wait_alu 0xfffd
	v_add_co_ci_u32_e32 v31, vcc_lo, s1, v27, vcc_lo
	v_cvt_f32_f64_e32 v4, v[10:11]
	v_add_co_u32 v2, vcc_lo, v30, s0
	s_wait_alu 0xfffd
	s_delay_alu instid0(VALU_DEP_3)
	v_add_co_ci_u32_e32 v3, vcc_lo, s1, v31, vcc_lo
	v_cvt_f32_f64_e32 v5, v[22:23]
	v_cvt_f32_f64_e32 v6, v[6:7]
	;; [unrolled: 1-line block ×6, first 2 shown]
	v_add_co_u32 v22, vcc_lo, v2, s0
	v_cvt_f32_f64_e32 v11, v[12:13]
	v_cvt_f32_f64_e32 v12, v[14:15]
	;; [unrolled: 1-line block ×5, first 2 shown]
	s_wait_alu 0xfffd
	v_add_co_ci_u32_e32 v23, vcc_lo, s1, v3, vcc_lo
	v_add_co_u32 v16, vcc_lo, v22, s0
	global_store_b64 v[26:27], v[24:25], off
	s_wait_alu 0xfffd
	v_add_co_ci_u32_e32 v17, vcc_lo, s1, v23, vcc_lo
	v_add_co_u32 v18, vcc_lo, v16, s0
	global_store_b64 v[30:31], v[28:29], off
	;; [unrolled: 4-line block ×4, first 2 shown]
	s_wait_alu 0xfffd
	v_add_co_ci_u32_e32 v3, vcc_lo, s1, v25, vcc_lo
	v_add_co_u32 v0, vcc_lo, v2, s0
	s_wait_alu 0xfffd
	s_delay_alu instid0(VALU_DEP_2)
	v_add_co_ci_u32_e32 v1, vcc_lo, s1, v3, vcc_lo
	global_store_b64 v[16:17], v[4:5], off
	v_add_co_u32 v4, vcc_lo, v0, s0
	s_wait_alu 0xfffd
	v_add_co_ci_u32_e32 v5, vcc_lo, s1, v1, vcc_lo
	global_store_b64 v[18:19], v[6:7], off
	global_store_b64 v[24:25], v[8:9], off
	;; [unrolled: 1-line block ×5, first 2 shown]
.LBB0_18:
	s_nop 0
	s_sendmsg sendmsg(MSG_DEALLOC_VGPRS)
	s_endpgm
	.section	.rodata,"a",@progbits
	.p2align	6, 0x0
	.amdhsa_kernel bluestein_single_fwd_len1815_dim1_sp_op_CI_CI
		.amdhsa_group_segment_fixed_size 14520
		.amdhsa_private_segment_fixed_size 0
		.amdhsa_kernarg_size 104
		.amdhsa_user_sgpr_count 2
		.amdhsa_user_sgpr_dispatch_ptr 0
		.amdhsa_user_sgpr_queue_ptr 0
		.amdhsa_user_sgpr_kernarg_segment_ptr 1
		.amdhsa_user_sgpr_dispatch_id 0
		.amdhsa_user_sgpr_private_segment_size 0
		.amdhsa_wavefront_size32 1
		.amdhsa_uses_dynamic_stack 0
		.amdhsa_enable_private_segment 0
		.amdhsa_system_sgpr_workgroup_id_x 1
		.amdhsa_system_sgpr_workgroup_id_y 0
		.amdhsa_system_sgpr_workgroup_id_z 0
		.amdhsa_system_sgpr_workgroup_info 0
		.amdhsa_system_vgpr_workitem_id 0
		.amdhsa_next_free_vgpr 228
		.amdhsa_next_free_sgpr 20
		.amdhsa_reserve_vcc 1
		.amdhsa_float_round_mode_32 0
		.amdhsa_float_round_mode_16_64 0
		.amdhsa_float_denorm_mode_32 3
		.amdhsa_float_denorm_mode_16_64 3
		.amdhsa_fp16_overflow 0
		.amdhsa_workgroup_processor_mode 1
		.amdhsa_memory_ordered 1
		.amdhsa_forward_progress 0
		.amdhsa_round_robin_scheduling 0
		.amdhsa_exception_fp_ieee_invalid_op 0
		.amdhsa_exception_fp_denorm_src 0
		.amdhsa_exception_fp_ieee_div_zero 0
		.amdhsa_exception_fp_ieee_overflow 0
		.amdhsa_exception_fp_ieee_underflow 0
		.amdhsa_exception_fp_ieee_inexact 0
		.amdhsa_exception_int_div_zero 0
	.end_amdhsa_kernel
	.text
.Lfunc_end0:
	.size	bluestein_single_fwd_len1815_dim1_sp_op_CI_CI, .Lfunc_end0-bluestein_single_fwd_len1815_dim1_sp_op_CI_CI
                                        ; -- End function
	.section	.AMDGPU.csdata,"",@progbits
; Kernel info:
; codeLenInByte = 16996
; NumSgprs: 22
; NumVgprs: 228
; ScratchSize: 0
; MemoryBound: 0
; FloatMode: 240
; IeeeMode: 1
; LDSByteSize: 14520 bytes/workgroup (compile time only)
; SGPRBlocks: 2
; VGPRBlocks: 28
; NumSGPRsForWavesPerEU: 22
; NumVGPRsForWavesPerEU: 228
; Occupancy: 6
; WaveLimiterHint : 1
; COMPUTE_PGM_RSRC2:SCRATCH_EN: 0
; COMPUTE_PGM_RSRC2:USER_SGPR: 2
; COMPUTE_PGM_RSRC2:TRAP_HANDLER: 0
; COMPUTE_PGM_RSRC2:TGID_X_EN: 1
; COMPUTE_PGM_RSRC2:TGID_Y_EN: 0
; COMPUTE_PGM_RSRC2:TGID_Z_EN: 0
; COMPUTE_PGM_RSRC2:TIDIG_COMP_CNT: 0
	.text
	.p2alignl 7, 3214868480
	.fill 96, 4, 3214868480
	.type	__hip_cuid_dd3cb85bbf67dcca,@object ; @__hip_cuid_dd3cb85bbf67dcca
	.section	.bss,"aw",@nobits
	.globl	__hip_cuid_dd3cb85bbf67dcca
__hip_cuid_dd3cb85bbf67dcca:
	.byte	0                               ; 0x0
	.size	__hip_cuid_dd3cb85bbf67dcca, 1

	.ident	"AMD clang version 19.0.0git (https://github.com/RadeonOpenCompute/llvm-project roc-6.4.0 25133 c7fe45cf4b819c5991fe208aaa96edf142730f1d)"
	.section	".note.GNU-stack","",@progbits
	.addrsig
	.addrsig_sym __hip_cuid_dd3cb85bbf67dcca
	.amdgpu_metadata
---
amdhsa.kernels:
  - .args:
      - .actual_access:  read_only
        .address_space:  global
        .offset:         0
        .size:           8
        .value_kind:     global_buffer
      - .actual_access:  read_only
        .address_space:  global
        .offset:         8
        .size:           8
        .value_kind:     global_buffer
      - .actual_access:  read_only
        .address_space:  global
        .offset:         16
        .size:           8
        .value_kind:     global_buffer
      - .actual_access:  read_only
        .address_space:  global
        .offset:         24
        .size:           8
        .value_kind:     global_buffer
      - .actual_access:  read_only
        .address_space:  global
        .offset:         32
        .size:           8
        .value_kind:     global_buffer
      - .offset:         40
        .size:           8
        .value_kind:     by_value
      - .address_space:  global
        .offset:         48
        .size:           8
        .value_kind:     global_buffer
      - .address_space:  global
        .offset:         56
        .size:           8
        .value_kind:     global_buffer
      - .address_space:  global
        .offset:         64
        .size:           8
        .value_kind:     global_buffer
      - .address_space:  global
        .offset:         72
        .size:           8
        .value_kind:     global_buffer
      - .offset:         80
        .size:           4
        .value_kind:     by_value
      - .address_space:  global
        .offset:         88
        .size:           8
        .value_kind:     global_buffer
      - .address_space:  global
        .offset:         96
        .size:           8
        .value_kind:     global_buffer
    .group_segment_fixed_size: 14520
    .kernarg_segment_align: 8
    .kernarg_segment_size: 104
    .language:       OpenCL C
    .language_version:
      - 2
      - 0
    .max_flat_workgroup_size: 165
    .name:           bluestein_single_fwd_len1815_dim1_sp_op_CI_CI
    .private_segment_fixed_size: 0
    .sgpr_count:     22
    .sgpr_spill_count: 0
    .symbol:         bluestein_single_fwd_len1815_dim1_sp_op_CI_CI.kd
    .uniform_work_group_size: 1
    .uses_dynamic_stack: false
    .vgpr_count:     228
    .vgpr_spill_count: 0
    .wavefront_size: 32
    .workgroup_processor_mode: 1
amdhsa.target:   amdgcn-amd-amdhsa--gfx1201
amdhsa.version:
  - 1
  - 2
...

	.end_amdgpu_metadata
